;; amdgpu-corpus repo=pytorch/pytorch kind=compiled arch=gfx90a opt=O3
	.text
	.amdgcn_target "amdgcn-amd-amdhsa--gfx90a"
	.amdhsa_code_object_version 6
	.section	.text._ZN2at6native30tinygemm_m16n8k16_chunk_kernelINS0_10ALayout_RMILNS0_14KReductionTypeE0EEENS0_15BLayout_TC_int4ILi2ELi32EEES4_Li8ELi8EEEvPKvS8_S8_Pviiiiii,"axG",@progbits,_ZN2at6native30tinygemm_m16n8k16_chunk_kernelINS0_10ALayout_RMILNS0_14KReductionTypeE0EEENS0_15BLayout_TC_int4ILi2ELi32EEES4_Li8ELi8EEEvPKvS8_S8_Pviiiiii,comdat
	.protected	_ZN2at6native30tinygemm_m16n8k16_chunk_kernelINS0_10ALayout_RMILNS0_14KReductionTypeE0EEENS0_15BLayout_TC_int4ILi2ELi32EEES4_Li8ELi8EEEvPKvS8_S8_Pviiiiii ; -- Begin function _ZN2at6native30tinygemm_m16n8k16_chunk_kernelINS0_10ALayout_RMILNS0_14KReductionTypeE0EEENS0_15BLayout_TC_int4ILi2ELi32EEES4_Li8ELi8EEEvPKvS8_S8_Pviiiiii
	.globl	_ZN2at6native30tinygemm_m16n8k16_chunk_kernelINS0_10ALayout_RMILNS0_14KReductionTypeE0EEENS0_15BLayout_TC_int4ILi2ELi32EEES4_Li8ELi8EEEvPKvS8_S8_Pviiiiii
	.p2align	8
	.type	_ZN2at6native30tinygemm_m16n8k16_chunk_kernelINS0_10ALayout_RMILNS0_14KReductionTypeE0EEENS0_15BLayout_TC_int4ILi2ELi32EEES4_Li8ELi8EEEvPKvS8_S8_Pviiiiii,@function
_ZN2at6native30tinygemm_m16n8k16_chunk_kernelINS0_10ALayout_RMILNS0_14KReductionTypeE0EEENS0_15BLayout_TC_int4ILi2ELi32EEES4_Li8ELi8EEEvPKvS8_S8_Pviiiiii: ; @_ZN2at6native30tinygemm_m16n8k16_chunk_kernelINS0_10ALayout_RMILNS0_14KReductionTypeE0EEENS0_15BLayout_TC_int4ILi2ELi32EEES4_Li8ELi8EEEvPKvS8_S8_Pviiiiii
; %bb.0:
	s_load_dwordx2 s[2:3], s[4:5], 0x30
	s_load_dwordx4 s[20:23], s[4:5], 0x0
	s_load_dwordx8 s[12:19], s[4:5], 0x10
	v_bfe_u32 v24, v0, 10, 10
	s_mov_b32 s24, 0
	s_waitcnt lgkmcnt(0)
	s_ashr_i32 s0, s3, 31
	s_lshr_b32 s0, s0, 29
	v_and_b32_e32 v26, 0x3ff, v0
	s_add_i32 s0, s3, s0
	v_lshlrev_b32_e32 v0, 3, v24
	s_mov_b32 s25, s24
	s_and_b32 s9, s0, -8
	v_lshl_add_u32 v28, s6, 6, v0
	s_mov_b32 s26, s24
	s_mov_b32 s27, s24
	v_pk_mov_b32 v[0:1], s[24:25], s[24:25] op_sel:[0,1]
	v_cmp_gt_i32_e32 vcc, s9, v28
	v_pk_mov_b32 v[2:3], s[26:27], s[26:27] op_sel:[0,1]
	v_and_b32_e32 v25, 15, v26
	v_lshrrev_b32_e32 v27, 2, v26
	s_and_saveexec_b64 s[4:5], vcc
	s_cbranch_execz .LBB0_268
; %bb.1:
	v_lshl_or_b32 v2, s8, 4, v25
	v_mul_lo_u32 v0, v2, s18
	v_ashrrev_i32_e32 v1, 31, v0
	s_lshr_b32 s0, s3, 31
	v_lshlrev_b64 v[0:1], 1, v[0:1]
	s_add_i32 s0, s3, s0
	v_mov_b32_e32 v4, s21
	v_add_co_u32_e32 v29, vcc, s20, v0
	s_ashr_i32 s19, s0, 1
	s_lshl_b32 s0, s2, 5
	s_lshl_b32 s26, s2, 6
	s_mul_i32 s28, s2, 0x60
	v_and_b32_e32 v3, 0xfc, v27
	v_addc_co_u32_e32 v30, vcc, v4, v1, vcc
	s_ashr_i32 s1, s0, 31
	s_ashr_i32 s27, s26, 31
	;; [unrolled: 1-line block ×3, first 2 shown]
	s_lshl_b32 s6, s6, 10
	v_lshlrev_b32_e32 v0, 7, v24
	v_mov_b32_e32 v32, 0
	v_cmp_gt_i32_e32 vcc, s16, v2
	s_mul_i32 s19, s19, s7
	v_lshl_or_b32 v31, s7, 4, v25
	s_lshl_b32 s33, s2, 4
	v_add3_u32 v4, s6, v0, v3
	s_mov_b64 s[10:11], 0
	s_lshl_b64 s[24:25], s[0:1], 1
	s_lshl_b64 s[26:27], s[26:27], 1
	;; [unrolled: 1-line block ×3, first 2 shown]
	v_mov_b32_e32 v33, 0xf000f
	v_mov_b32_e32 v34, 0x43004300
	s_mov_b32 s6, 0x7f800000
	s_movk_i32 s34, 0x7fff
	s_mov_b32 s35, 0x3020706
	v_mov_b32_e32 v0, 0
	v_mov_b32_e32 v1, v32
	;; [unrolled: 1-line block ×4, first 2 shown]
	s_branch .LBB0_3
.LBB0_2:                                ;   in Loop: Header=BB0_3 Depth=1
	s_or_b64 exec, exec, s[30:31]
	v_perm_b32 v67, v35, v36, s35
	v_perm_b32 v66, v22, v23, s35
	;; [unrolled: 1-line block ×4, first 2 shown]
	v_mfma_f32_16x16x16bf16_1k v[66:69], v[8:9], v[66:67], 0
	v_perm_b32 v9, v39, v40, s35
	v_perm_b32 v8, v37, v38, s35
	;; [unrolled: 1-line block ×5, first 2 shown]
	v_add_u32_e32 v28, 64, v28
	v_cmp_le_i32_e64 s[0:1], s9, v28
	v_mfma_f32_16x16x16bf16_1k v[6:9], v[6:7], v[8:9], 0
	s_nop 2
	v_pk_add_f32 v[2:3], v[2:3], v[68:69]
	v_pk_add_f32 v[0:1], v[0:1], v[66:67]
	s_or_b64 s[10:11], s[0:1], s[10:11]
	v_add_u32_e32 v4, 0x400, v4
	v_mfma_f32_16x16x16bf16_1k v[36:39], v[16:17], v[22:23], 0
	v_perm_b32 v17, v49, v50, s35
	v_perm_b32 v16, v47, v48, s35
	;; [unrolled: 1-line block ×4, first 2 shown]
	v_pk_add_f32 v[2:3], v[2:3], v[8:9]
	v_perm_b32 v47, v59, v60, s35
	v_pk_add_f32 v[0:1], v[0:1], v[6:7]
	v_mfma_f32_16x16x16bf16_1k v[14:17], v[14:15], v[16:17], 0
	s_nop 2
	v_pk_add_f32 v[2:3], v[2:3], v[38:39]
	v_pk_add_f32 v[6:7], v[0:1], v[36:37]
	v_mfma_f32_16x16x16bf16_1k v[42:45], v[10:11], v[22:23], 0
	v_perm_b32 v11, v56, v57, s35
	v_perm_b32 v10, v54, v55, s35
	s_nop 2
	v_pk_add_f32 v[8:9], v[2:3], v[16:17]
	v_pk_add_f32 v[6:7], v[6:7], v[14:15]
	v_mfma_f32_16x16x16bf16_1k v[20:23], v[20:21], v[10:11], 0
	s_nop 2
	v_pk_add_f32 v[8:9], v[8:9], v[44:45]
	v_pk_add_f32 v[6:7], v[6:7], v[42:43]
	v_mfma_f32_16x16x16bf16_1k v[0:3], v[18:19], v[46:47], 0
	s_nop 4
	v_pk_add_f32 v[8:9], v[8:9], v[22:23]
	v_pk_add_f32 v[6:7], v[6:7], v[20:21]
	s_nop 3
	v_pk_add_f32 v[8:9], v[8:9], v[2:3]
	v_pk_add_f32 v[6:7], v[6:7], v[0:1]
	v_mfma_f32_16x16x16bf16_1k v[0:3], v[12:13], v[40:41], 0
	s_nop 7
	s_nop 2
	v_pk_add_f32 v[2:3], v[8:9], v[2:3]
	v_pk_add_f32 v[0:1], v[6:7], v[0:1]
	s_andn2_b64 exec, exec, s[10:11]
	s_cbranch_execz .LBB0_267
.LBB0_3:                                ; =>This Inner Loop Header: Depth=1
	v_ashrrev_i32_e32 v5, 31, v4
	v_lshlrev_b64 v[6:7], 1, v[4:5]
	v_add_co_u32_e64 v22, s[0:1], v29, v6
	v_addc_co_u32_e64 v23, s[0:1], v30, v7, s[0:1]
	v_mov_b32_e32 v8, 0
	v_mov_b32_e32 v9, 0
	;; [unrolled: 1-line block ×4, first 2 shown]
	s_and_saveexec_b64 s[0:1], vcc
	s_cbranch_execz .LBB0_5
; %bb.4:                                ;   in Loop: Header=BB0_3 Depth=1
	global_load_dwordx2 v[8:9], v[22:23], off
	global_load_dwordx2 v[6:7], v[22:23], off offset:32
.LBB0_5:                                ;   in Loop: Header=BB0_3 Depth=1
	s_or_b64 exec, exec, s[0:1]
	v_mov_b32_e32 v10, 0
	v_mov_b32_e32 v16, 0
	;; [unrolled: 1-line block ×5, first 2 shown]
	s_and_saveexec_b64 s[0:1], vcc
	s_cbranch_execz .LBB0_7
; %bb.6:                                ;   in Loop: Header=BB0_3 Depth=1
	global_load_dwordx2 v[16:17], v[22:23], off offset:64
	global_load_dwordx2 v[14:15], v[22:23], off offset:96
.LBB0_7:                                ;   in Loop: Header=BB0_3 Depth=1
	s_or_b64 exec, exec, s[0:1]
	v_mov_b32_e32 v11, 0
	v_mov_b32_e32 v20, 0
	;; [unrolled: 1-line block ×3, first 2 shown]
	s_and_saveexec_b64 s[0:1], vcc
	s_cbranch_execz .LBB0_9
; %bb.8:                                ;   in Loop: Header=BB0_3 Depth=1
	global_load_dwordx2 v[10:11], v[22:23], off offset:128
	global_load_dwordx2 v[20:21], v[22:23], off offset:160
.LBB0_9:                                ;   in Loop: Header=BB0_3 Depth=1
	s_or_b64 exec, exec, s[0:1]
	v_mov_b32_e32 v18, 0
	v_mov_b32_e32 v19, 0
	v_mov_b32_e32 v12, 0
	v_mov_b32_e32 v13, 0
	s_and_saveexec_b64 s[0:1], vcc
	s_cbranch_execz .LBB0_11
; %bb.10:                               ;   in Loop: Header=BB0_3 Depth=1
	global_load_dwordx2 v[18:19], v[22:23], off offset:192
	global_load_dwordx2 v[12:13], v[22:23], off offset:224
.LBB0_11:                               ;   in Loop: Header=BB0_3 Depth=1
	s_or_b64 exec, exec, s[0:1]
	v_ashrrev_i32_e32 v5, 1, v28
	v_add_u32_e32 v22, s19, v5
	v_lshl_add_u32 v22, v22, 6, v26
	v_ashrrev_i32_e32 v23, 31, v22
	v_lshlrev_b64 v[22:23], 2, v[22:23]
	v_mov_b32_e32 v35, s23
	v_add_co_u32_e64 v22, s[0:1], s22, v22
	v_addc_co_u32_e64 v23, s[0:1], v35, v23, s[0:1]
	v_mul_lo_u32 v5, s33, v5
	global_load_dword v35, v[22:23], off
	global_load_dword v44, v[22:23], off offset:256
	global_load_dword v51, v[22:23], off offset:512
	;; [unrolled: 1-line block ×3, first 2 shown]
	v_add_lshl_u32 v22, v31, v5, 1
	v_ashrrev_i32_e32 v23, 31, v22
	v_lshlrev_b64 v[22:23], 1, v[22:23]
	v_mov_b32_e32 v5, s13
	v_add_co_u32_e64 v36, s[0:1], s12, v22
	v_addc_co_u32_e64 v37, s[0:1], v5, v23, s[0:1]
	v_mov_b32_e32 v5, s25
	v_add_co_u32_e64 v38, s[0:1], s24, v36
	v_addc_co_u32_e64 v39, s[0:1], v37, v5, s[0:1]
	;; [unrolled: 3-line block ×4, first 2 shown]
	global_load_dword v22, v[36:37], off
	global_load_dword v42, v[38:39], off
	;; [unrolled: 1-line block ×4, first 2 shown]
                                        ; implicit-def: $vgpr45
	s_waitcnt vmcnt(7)
	;;#ASMSTART
	v_and_or_b32 v23, v35, v33, v34
	;;#ASMEND
	v_lshrrev_b32_e32 v36, 4, v35
	v_lshrrev_b32_e32 v37, 8, v35
	;; [unrolled: 1-line block ×3, first 2 shown]
	;;#ASMSTART
	v_and_or_b32 v36, v36, v33, v34
	;;#ASMEND
	;;#ASMSTART
	v_and_or_b32 v38, v37, v33, v34
	;;#ASMEND
	;; [unrolled: 3-line block ×3, first 2 shown]
	v_lshlrev_b32_e32 v35, 16, v23
	v_add_f32_e32 v35, 0xc3080000, v35
	v_and_b32_e32 v37, 0x7f800000, v35
	v_cmp_ne_u32_e64 s[0:1], s6, v37
	s_and_saveexec_b64 s[30:31], s[0:1]
	s_xor_b64 s[0:1], exec, s[30:31]
; %bb.12:                               ;   in Loop: Header=BB0_3 Depth=1
	v_bfe_u32 v37, v35, 16, 1
	v_add3_u32 v45, v35, v37, s34
                                        ; implicit-def: $vgpr35
; %bb.13:                               ;   in Loop: Header=BB0_3 Depth=1
	s_andn2_saveexec_b64 s[30:31], s[0:1]
; %bb.14:                               ;   in Loop: Header=BB0_3 Depth=1
	v_or_b32_e32 v37, 0x10000, v35
	v_cmp_eq_u32_sdwa s[0:1], v35, v32 src0_sel:WORD_0 src1_sel:DWORD
	v_cndmask_b32_e64 v45, v37, v35, s[0:1]
; %bb.15:                               ;   in Loop: Header=BB0_3 Depth=1
	s_or_b64 exec, exec, s[30:31]
	v_and_b32_e32 v23, 0xffff0000, v23
	v_add_f32_e32 v35, 0xc3080000, v23
	v_and_b32_e32 v23, 0x7f800000, v35
	v_cmp_ne_u32_e64 s[0:1], s6, v23
                                        ; implicit-def: $vgpr23
	s_and_saveexec_b64 s[30:31], s[0:1]
	s_xor_b64 s[0:1], exec, s[30:31]
; %bb.16:                               ;   in Loop: Header=BB0_3 Depth=1
	v_bfe_u32 v23, v35, 16, 1
	v_add3_u32 v23, v35, v23, s34
                                        ; implicit-def: $vgpr35
; %bb.17:                               ;   in Loop: Header=BB0_3 Depth=1
	s_andn2_saveexec_b64 s[30:31], s[0:1]
; %bb.18:                               ;   in Loop: Header=BB0_3 Depth=1
	v_or_b32_e32 v23, 0x10000, v35
	v_cmp_eq_u32_sdwa s[0:1], v35, v32 src0_sel:WORD_0 src1_sel:DWORD
	v_cndmask_b32_e64 v23, v23, v35, s[0:1]
; %bb.19:                               ;   in Loop: Header=BB0_3 Depth=1
	s_or_b64 exec, exec, s[30:31]
	v_lshlrev_b32_e32 v35, 16, v36
	v_add_f32_e32 v37, 0xc3080000, v35
	v_and_b32_e32 v35, 0x7f800000, v37
	v_cmp_ne_u32_e64 s[0:1], s6, v35
                                        ; implicit-def: $vgpr35
	s_and_saveexec_b64 s[30:31], s[0:1]
	s_xor_b64 s[0:1], exec, s[30:31]
; %bb.20:                               ;   in Loop: Header=BB0_3 Depth=1
	v_bfe_u32 v35, v37, 16, 1
	v_add3_u32 v35, v37, v35, s34
                                        ; implicit-def: $vgpr37
; %bb.21:                               ;   in Loop: Header=BB0_3 Depth=1
	s_andn2_saveexec_b64 s[30:31], s[0:1]
; %bb.22:                               ;   in Loop: Header=BB0_3 Depth=1
	v_or_b32_e32 v35, 0x10000, v37
	v_cmp_eq_u32_sdwa s[0:1], v37, v32 src0_sel:WORD_0 src1_sel:DWORD
	v_cndmask_b32_e64 v35, v35, v37, s[0:1]
; %bb.23:                               ;   in Loop: Header=BB0_3 Depth=1
	s_or_b64 exec, exec, s[30:31]
	v_and_b32_e32 v36, 0xffff0000, v36
	v_add_f32_e32 v37, 0xc3080000, v36
	v_and_b32_e32 v36, 0x7f800000, v37
	v_cmp_ne_u32_e64 s[0:1], s6, v36
                                        ; implicit-def: $vgpr36
	s_and_saveexec_b64 s[30:31], s[0:1]
	s_xor_b64 s[0:1], exec, s[30:31]
; %bb.24:                               ;   in Loop: Header=BB0_3 Depth=1
	v_bfe_u32 v36, v37, 16, 1
	v_add3_u32 v36, v37, v36, s34
                                        ; implicit-def: $vgpr37
; %bb.25:                               ;   in Loop: Header=BB0_3 Depth=1
	s_andn2_saveexec_b64 s[30:31], s[0:1]
; %bb.26:                               ;   in Loop: Header=BB0_3 Depth=1
	v_or_b32_e32 v36, 0x10000, v37
	v_cmp_eq_u32_sdwa s[0:1], v37, v32 src0_sel:WORD_0 src1_sel:DWORD
	v_cndmask_b32_e64 v36, v36, v37, s[0:1]
; %bb.27:                               ;   in Loop: Header=BB0_3 Depth=1
	s_or_b64 exec, exec, s[30:31]
	v_lshlrev_b32_e32 v37, 16, v38
	v_add_f32_e32 v39, 0xc3080000, v37
	v_and_b32_e32 v37, 0x7f800000, v39
	v_cmp_ne_u32_e64 s[0:1], s6, v37
                                        ; implicit-def: $vgpr37
	s_and_saveexec_b64 s[30:31], s[0:1]
	s_xor_b64 s[0:1], exec, s[30:31]
; %bb.28:                               ;   in Loop: Header=BB0_3 Depth=1
	v_bfe_u32 v37, v39, 16, 1
	v_add3_u32 v37, v39, v37, s34
                                        ; implicit-def: $vgpr39
; %bb.29:                               ;   in Loop: Header=BB0_3 Depth=1
	s_andn2_saveexec_b64 s[30:31], s[0:1]
; %bb.30:                               ;   in Loop: Header=BB0_3 Depth=1
	v_or_b32_e32 v37, 0x10000, v39
	v_cmp_eq_u32_sdwa s[0:1], v39, v32 src0_sel:WORD_0 src1_sel:DWORD
	v_cndmask_b32_e64 v37, v37, v39, s[0:1]
; %bb.31:                               ;   in Loop: Header=BB0_3 Depth=1
	s_or_b64 exec, exec, s[30:31]
	v_and_b32_e32 v38, 0xffff0000, v38
	v_add_f32_e32 v39, 0xc3080000, v38
	v_and_b32_e32 v38, 0x7f800000, v39
	v_cmp_ne_u32_e64 s[0:1], s6, v38
                                        ; implicit-def: $vgpr38
	s_and_saveexec_b64 s[30:31], s[0:1]
	s_xor_b64 s[0:1], exec, s[30:31]
; %bb.32:                               ;   in Loop: Header=BB0_3 Depth=1
	v_bfe_u32 v38, v39, 16, 1
	v_add3_u32 v38, v39, v38, s34
                                        ; implicit-def: $vgpr39
; %bb.33:                               ;   in Loop: Header=BB0_3 Depth=1
	s_andn2_saveexec_b64 s[30:31], s[0:1]
; %bb.34:                               ;   in Loop: Header=BB0_3 Depth=1
	v_or_b32_e32 v38, 0x10000, v39
	v_cmp_eq_u32_sdwa s[0:1], v39, v32 src0_sel:WORD_0 src1_sel:DWORD
	v_cndmask_b32_e64 v38, v38, v39, s[0:1]
; %bb.35:                               ;   in Loop: Header=BB0_3 Depth=1
	s_or_b64 exec, exec, s[30:31]
	v_lshlrev_b32_e32 v39, 16, v40
	v_add_f32_e32 v46, 0xc3080000, v39
	v_and_b32_e32 v39, 0x7f800000, v46
	v_cmp_ne_u32_e64 s[0:1], s6, v39
                                        ; implicit-def: $vgpr39
	s_and_saveexec_b64 s[30:31], s[0:1]
	s_xor_b64 s[0:1], exec, s[30:31]
; %bb.36:                               ;   in Loop: Header=BB0_3 Depth=1
	v_bfe_u32 v39, v46, 16, 1
	v_add3_u32 v39, v46, v39, s34
                                        ; implicit-def: $vgpr46
; %bb.37:                               ;   in Loop: Header=BB0_3 Depth=1
	s_andn2_saveexec_b64 s[30:31], s[0:1]
; %bb.38:                               ;   in Loop: Header=BB0_3 Depth=1
	v_or_b32_e32 v39, 0x10000, v46
	v_cmp_eq_u32_sdwa s[0:1], v46, v32 src0_sel:WORD_0 src1_sel:DWORD
	v_cndmask_b32_e64 v39, v39, v46, s[0:1]
; %bb.39:                               ;   in Loop: Header=BB0_3 Depth=1
	s_or_b64 exec, exec, s[30:31]
	v_and_b32_e32 v40, 0xffff0000, v40
	v_add_f32_e32 v46, 0xc3080000, v40
	v_and_b32_e32 v40, 0x7f800000, v46
	v_cmp_ne_u32_e64 s[0:1], s6, v40
                                        ; implicit-def: $vgpr40
	s_and_saveexec_b64 s[30:31], s[0:1]
	s_xor_b64 s[0:1], exec, s[30:31]
; %bb.40:                               ;   in Loop: Header=BB0_3 Depth=1
	v_bfe_u32 v40, v46, 16, 1
	v_add3_u32 v40, v46, v40, s34
                                        ; implicit-def: $vgpr46
; %bb.41:                               ;   in Loop: Header=BB0_3 Depth=1
	s_andn2_saveexec_b64 s[30:31], s[0:1]
; %bb.42:                               ;   in Loop: Header=BB0_3 Depth=1
	v_or_b32_e32 v40, 0x10000, v46
	v_cmp_eq_u32_sdwa s[0:1], v46, v32 src0_sel:WORD_0 src1_sel:DWORD
	v_cndmask_b32_e64 v40, v40, v46, s[0:1]
; %bb.43:                               ;   in Loop: Header=BB0_3 Depth=1
	s_or_b64 exec, exec, s[30:31]
	v_and_b32_e32 v47, 0xffff0000, v45
	s_waitcnt vmcnt(3)
	v_lshlrev_b32_e32 v46, 16, v22
	v_and_b32_e32 v45, 0xffff0000, v22
	v_fma_f32 v47, v47, v46, v45
	v_and_b32_e32 v22, 0x7f800000, v47
	v_cmp_ne_u32_e64 s[0:1], s6, v22
                                        ; implicit-def: $vgpr22
	s_and_saveexec_b64 s[30:31], s[0:1]
	s_xor_b64 s[0:1], exec, s[30:31]
; %bb.44:                               ;   in Loop: Header=BB0_3 Depth=1
	v_bfe_u32 v22, v47, 16, 1
	v_add3_u32 v22, v47, v22, s34
                                        ; implicit-def: $vgpr47
; %bb.45:                               ;   in Loop: Header=BB0_3 Depth=1
	s_andn2_saveexec_b64 s[30:31], s[0:1]
; %bb.46:                               ;   in Loop: Header=BB0_3 Depth=1
	v_or_b32_e32 v22, 0x10000, v47
	v_cmp_eq_u32_sdwa s[0:1], v47, v32 src0_sel:WORD_0 src1_sel:DWORD
	v_cndmask_b32_e64 v22, v22, v47, s[0:1]
; %bb.47:                               ;   in Loop: Header=BB0_3 Depth=1
	s_or_b64 exec, exec, s[30:31]
	v_and_b32_e32 v23, 0xffff0000, v23
	v_fma_f32 v47, v23, v46, v45
	v_and_b32_e32 v23, 0x7f800000, v47
	v_cmp_ne_u32_e64 s[0:1], s6, v23
                                        ; implicit-def: $vgpr23
	s_and_saveexec_b64 s[30:31], s[0:1]
	s_xor_b64 s[0:1], exec, s[30:31]
; %bb.48:                               ;   in Loop: Header=BB0_3 Depth=1
	v_bfe_u32 v23, v47, 16, 1
	v_add3_u32 v23, v47, v23, s34
                                        ; implicit-def: $vgpr47
; %bb.49:                               ;   in Loop: Header=BB0_3 Depth=1
	s_andn2_saveexec_b64 s[30:31], s[0:1]
; %bb.50:                               ;   in Loop: Header=BB0_3 Depth=1
	v_or_b32_e32 v23, 0x10000, v47
	v_cmp_eq_u32_sdwa s[0:1], v47, v32 src0_sel:WORD_0 src1_sel:DWORD
	v_cndmask_b32_e64 v23, v23, v47, s[0:1]
; %bb.51:                               ;   in Loop: Header=BB0_3 Depth=1
	s_or_b64 exec, exec, s[30:31]
	v_and_b32_e32 v35, 0xffff0000, v35
	v_fma_f32 v47, v35, v46, v45
	v_and_b32_e32 v35, 0x7f800000, v47
	v_cmp_ne_u32_e64 s[0:1], s6, v35
                                        ; implicit-def: $vgpr35
	s_and_saveexec_b64 s[30:31], s[0:1]
	s_xor_b64 s[0:1], exec, s[30:31]
; %bb.52:                               ;   in Loop: Header=BB0_3 Depth=1
	v_bfe_u32 v35, v47, 16, 1
	v_add3_u32 v35, v47, v35, s34
                                        ; implicit-def: $vgpr47
; %bb.53:                               ;   in Loop: Header=BB0_3 Depth=1
	s_andn2_saveexec_b64 s[30:31], s[0:1]
; %bb.54:                               ;   in Loop: Header=BB0_3 Depth=1
	v_or_b32_e32 v35, 0x10000, v47
	v_cmp_eq_u32_sdwa s[0:1], v47, v32 src0_sel:WORD_0 src1_sel:DWORD
	v_cndmask_b32_e64 v35, v35, v47, s[0:1]
; %bb.55:                               ;   in Loop: Header=BB0_3 Depth=1
	s_or_b64 exec, exec, s[30:31]
	v_and_b32_e32 v36, 0xffff0000, v36
	v_fma_f32 v47, v36, v46, v45
	v_and_b32_e32 v36, 0x7f800000, v47
	v_cmp_ne_u32_e64 s[0:1], s6, v36
                                        ; implicit-def: $vgpr36
	s_and_saveexec_b64 s[30:31], s[0:1]
	s_xor_b64 s[0:1], exec, s[30:31]
; %bb.56:                               ;   in Loop: Header=BB0_3 Depth=1
	v_bfe_u32 v36, v47, 16, 1
	v_add3_u32 v36, v47, v36, s34
                                        ; implicit-def: $vgpr47
; %bb.57:                               ;   in Loop: Header=BB0_3 Depth=1
	s_andn2_saveexec_b64 s[30:31], s[0:1]
; %bb.58:                               ;   in Loop: Header=BB0_3 Depth=1
	v_or_b32_e32 v36, 0x10000, v47
	v_cmp_eq_u32_sdwa s[0:1], v47, v32 src0_sel:WORD_0 src1_sel:DWORD
	v_cndmask_b32_e64 v36, v36, v47, s[0:1]
; %bb.59:                               ;   in Loop: Header=BB0_3 Depth=1
	s_or_b64 exec, exec, s[30:31]
	v_and_b32_e32 v37, 0xffff0000, v37
	v_fma_f32 v47, v37, v46, v45
	v_and_b32_e32 v37, 0x7f800000, v47
	v_cmp_ne_u32_e64 s[0:1], s6, v37
                                        ; implicit-def: $vgpr37
	s_and_saveexec_b64 s[30:31], s[0:1]
	s_xor_b64 s[0:1], exec, s[30:31]
; %bb.60:                               ;   in Loop: Header=BB0_3 Depth=1
	v_bfe_u32 v37, v47, 16, 1
	v_add3_u32 v37, v47, v37, s34
                                        ; implicit-def: $vgpr47
; %bb.61:                               ;   in Loop: Header=BB0_3 Depth=1
	s_andn2_saveexec_b64 s[30:31], s[0:1]
; %bb.62:                               ;   in Loop: Header=BB0_3 Depth=1
	v_or_b32_e32 v37, 0x10000, v47
	v_cmp_eq_u32_sdwa s[0:1], v47, v32 src0_sel:WORD_0 src1_sel:DWORD
	v_cndmask_b32_e64 v37, v37, v47, s[0:1]
; %bb.63:                               ;   in Loop: Header=BB0_3 Depth=1
	s_or_b64 exec, exec, s[30:31]
	v_and_b32_e32 v38, 0xffff0000, v38
	v_fma_f32 v47, v38, v46, v45
	v_and_b32_e32 v38, 0x7f800000, v47
	v_cmp_ne_u32_e64 s[0:1], s6, v38
                                        ; implicit-def: $vgpr38
	s_and_saveexec_b64 s[30:31], s[0:1]
	s_xor_b64 s[0:1], exec, s[30:31]
; %bb.64:                               ;   in Loop: Header=BB0_3 Depth=1
	v_bfe_u32 v38, v47, 16, 1
	v_add3_u32 v38, v47, v38, s34
                                        ; implicit-def: $vgpr47
; %bb.65:                               ;   in Loop: Header=BB0_3 Depth=1
	s_andn2_saveexec_b64 s[30:31], s[0:1]
; %bb.66:                               ;   in Loop: Header=BB0_3 Depth=1
	v_or_b32_e32 v38, 0x10000, v47
	v_cmp_eq_u32_sdwa s[0:1], v47, v32 src0_sel:WORD_0 src1_sel:DWORD
	v_cndmask_b32_e64 v38, v38, v47, s[0:1]
; %bb.67:                               ;   in Loop: Header=BB0_3 Depth=1
	s_or_b64 exec, exec, s[30:31]
	v_and_b32_e32 v39, 0xffff0000, v39
	v_fma_f32 v47, v39, v46, v45
	v_and_b32_e32 v39, 0x7f800000, v47
	v_cmp_ne_u32_e64 s[0:1], s6, v39
                                        ; implicit-def: $vgpr39
	s_and_saveexec_b64 s[30:31], s[0:1]
	s_xor_b64 s[0:1], exec, s[30:31]
; %bb.68:                               ;   in Loop: Header=BB0_3 Depth=1
	v_bfe_u32 v39, v47, 16, 1
	v_add3_u32 v39, v47, v39, s34
                                        ; implicit-def: $vgpr47
; %bb.69:                               ;   in Loop: Header=BB0_3 Depth=1
	s_andn2_saveexec_b64 s[30:31], s[0:1]
; %bb.70:                               ;   in Loop: Header=BB0_3 Depth=1
	v_or_b32_e32 v39, 0x10000, v47
	v_cmp_eq_u32_sdwa s[0:1], v47, v32 src0_sel:WORD_0 src1_sel:DWORD
	v_cndmask_b32_e64 v39, v39, v47, s[0:1]
; %bb.71:                               ;   in Loop: Header=BB0_3 Depth=1
	s_or_b64 exec, exec, s[30:31]
	v_and_b32_e32 v40, 0xffff0000, v40
	v_fmac_f32_e32 v45, v40, v46
	v_and_b32_e32 v40, 0x7f800000, v45
	v_cmp_ne_u32_e64 s[0:1], s6, v40
                                        ; implicit-def: $vgpr40
	s_and_saveexec_b64 s[30:31], s[0:1]
	s_xor_b64 s[0:1], exec, s[30:31]
; %bb.72:                               ;   in Loop: Header=BB0_3 Depth=1
	v_bfe_u32 v40, v45, 16, 1
	v_add3_u32 v40, v45, v40, s34
                                        ; implicit-def: $vgpr45
; %bb.73:                               ;   in Loop: Header=BB0_3 Depth=1
	s_andn2_saveexec_b64 s[30:31], s[0:1]
; %bb.74:                               ;   in Loop: Header=BB0_3 Depth=1
	v_or_b32_e32 v40, 0x10000, v45
	v_cmp_eq_u32_sdwa s[0:1], v45, v32 src0_sel:WORD_0 src1_sel:DWORD
	v_cndmask_b32_e64 v40, v40, v45, s[0:1]
; %bb.75:                               ;   in Loop: Header=BB0_3 Depth=1
	s_or_b64 exec, exec, s[30:31]
	;;#ASMSTART
	v_and_or_b32 v45, v44, v33, v34
	;;#ASMEND
	v_lshrrev_b32_e32 v46, 4, v44
	v_lshrrev_b32_e32 v47, 8, v44
	;; [unrolled: 1-line block ×3, first 2 shown]
	;;#ASMSTART
	v_and_or_b32 v46, v46, v33, v34
	;;#ASMEND
	;;#ASMSTART
	v_and_or_b32 v48, v47, v33, v34
	;;#ASMEND
	;; [unrolled: 3-line block ×3, first 2 shown]
	v_lshlrev_b32_e32 v44, 16, v45
	v_add_f32_e32 v44, 0xc3080000, v44
	v_and_b32_e32 v47, 0x7f800000, v44
	v_cmp_ne_u32_e64 s[0:1], s6, v47
                                        ; implicit-def: $vgpr52
	s_and_saveexec_b64 s[30:31], s[0:1]
	s_xor_b64 s[0:1], exec, s[30:31]
; %bb.76:                               ;   in Loop: Header=BB0_3 Depth=1
	v_bfe_u32 v47, v44, 16, 1
	v_add3_u32 v52, v44, v47, s34
                                        ; implicit-def: $vgpr44
; %bb.77:                               ;   in Loop: Header=BB0_3 Depth=1
	s_andn2_saveexec_b64 s[30:31], s[0:1]
; %bb.78:                               ;   in Loop: Header=BB0_3 Depth=1
	v_or_b32_e32 v47, 0x10000, v44
	v_cmp_eq_u32_sdwa s[0:1], v44, v32 src0_sel:WORD_0 src1_sel:DWORD
	v_cndmask_b32_e64 v52, v47, v44, s[0:1]
; %bb.79:                               ;   in Loop: Header=BB0_3 Depth=1
	s_or_b64 exec, exec, s[30:31]
	v_and_b32_e32 v44, 0xffff0000, v45
	v_add_f32_e32 v45, 0xc3080000, v44
	v_and_b32_e32 v44, 0x7f800000, v45
	v_cmp_ne_u32_e64 s[0:1], s6, v44
                                        ; implicit-def: $vgpr44
	s_and_saveexec_b64 s[30:31], s[0:1]
	s_xor_b64 s[0:1], exec, s[30:31]
; %bb.80:                               ;   in Loop: Header=BB0_3 Depth=1
	v_bfe_u32 v44, v45, 16, 1
	v_add3_u32 v44, v45, v44, s34
                                        ; implicit-def: $vgpr45
; %bb.81:                               ;   in Loop: Header=BB0_3 Depth=1
	s_andn2_saveexec_b64 s[30:31], s[0:1]
; %bb.82:                               ;   in Loop: Header=BB0_3 Depth=1
	v_or_b32_e32 v44, 0x10000, v45
	v_cmp_eq_u32_sdwa s[0:1], v45, v32 src0_sel:WORD_0 src1_sel:DWORD
	v_cndmask_b32_e64 v44, v44, v45, s[0:1]
; %bb.83:                               ;   in Loop: Header=BB0_3 Depth=1
	s_or_b64 exec, exec, s[30:31]
	v_lshlrev_b32_e32 v45, 16, v46
	v_add_f32_e32 v47, 0xc3080000, v45
	v_and_b32_e32 v45, 0x7f800000, v47
	v_cmp_ne_u32_e64 s[0:1], s6, v45
                                        ; implicit-def: $vgpr45
	s_and_saveexec_b64 s[30:31], s[0:1]
	s_xor_b64 s[0:1], exec, s[30:31]
; %bb.84:                               ;   in Loop: Header=BB0_3 Depth=1
	v_bfe_u32 v45, v47, 16, 1
	v_add3_u32 v45, v47, v45, s34
                                        ; implicit-def: $vgpr47
; %bb.85:                               ;   in Loop: Header=BB0_3 Depth=1
	s_andn2_saveexec_b64 s[30:31], s[0:1]
; %bb.86:                               ;   in Loop: Header=BB0_3 Depth=1
	v_or_b32_e32 v45, 0x10000, v47
	v_cmp_eq_u32_sdwa s[0:1], v47, v32 src0_sel:WORD_0 src1_sel:DWORD
	v_cndmask_b32_e64 v45, v45, v47, s[0:1]
; %bb.87:                               ;   in Loop: Header=BB0_3 Depth=1
	s_or_b64 exec, exec, s[30:31]
	v_and_b32_e32 v46, 0xffff0000, v46
	v_add_f32_e32 v47, 0xc3080000, v46
	v_and_b32_e32 v46, 0x7f800000, v47
	v_cmp_ne_u32_e64 s[0:1], s6, v46
                                        ; implicit-def: $vgpr46
	s_and_saveexec_b64 s[30:31], s[0:1]
	s_xor_b64 s[0:1], exec, s[30:31]
; %bb.88:                               ;   in Loop: Header=BB0_3 Depth=1
	v_bfe_u32 v46, v47, 16, 1
	v_add3_u32 v46, v47, v46, s34
                                        ; implicit-def: $vgpr47
; %bb.89:                               ;   in Loop: Header=BB0_3 Depth=1
	s_andn2_saveexec_b64 s[30:31], s[0:1]
; %bb.90:                               ;   in Loop: Header=BB0_3 Depth=1
	v_or_b32_e32 v46, 0x10000, v47
	v_cmp_eq_u32_sdwa s[0:1], v47, v32 src0_sel:WORD_0 src1_sel:DWORD
	v_cndmask_b32_e64 v46, v46, v47, s[0:1]
; %bb.91:                               ;   in Loop: Header=BB0_3 Depth=1
	s_or_b64 exec, exec, s[30:31]
	v_lshlrev_b32_e32 v47, 16, v48
	v_add_f32_e32 v49, 0xc3080000, v47
	v_and_b32_e32 v47, 0x7f800000, v49
	v_cmp_ne_u32_e64 s[0:1], s6, v47
                                        ; implicit-def: $vgpr47
	s_and_saveexec_b64 s[30:31], s[0:1]
	s_xor_b64 s[0:1], exec, s[30:31]
; %bb.92:                               ;   in Loop: Header=BB0_3 Depth=1
	v_bfe_u32 v47, v49, 16, 1
	v_add3_u32 v47, v49, v47, s34
                                        ; implicit-def: $vgpr49
; %bb.93:                               ;   in Loop: Header=BB0_3 Depth=1
	s_andn2_saveexec_b64 s[30:31], s[0:1]
; %bb.94:                               ;   in Loop: Header=BB0_3 Depth=1
	v_or_b32_e32 v47, 0x10000, v49
	v_cmp_eq_u32_sdwa s[0:1], v49, v32 src0_sel:WORD_0 src1_sel:DWORD
	v_cndmask_b32_e64 v47, v47, v49, s[0:1]
; %bb.95:                               ;   in Loop: Header=BB0_3 Depth=1
	s_or_b64 exec, exec, s[30:31]
	v_and_b32_e32 v48, 0xffff0000, v48
	v_add_f32_e32 v49, 0xc3080000, v48
	v_and_b32_e32 v48, 0x7f800000, v49
	v_cmp_ne_u32_e64 s[0:1], s6, v48
                                        ; implicit-def: $vgpr48
	s_and_saveexec_b64 s[30:31], s[0:1]
	s_xor_b64 s[0:1], exec, s[30:31]
; %bb.96:                               ;   in Loop: Header=BB0_3 Depth=1
	v_bfe_u32 v48, v49, 16, 1
	v_add3_u32 v48, v49, v48, s34
                                        ; implicit-def: $vgpr49
; %bb.97:                               ;   in Loop: Header=BB0_3 Depth=1
	s_andn2_saveexec_b64 s[30:31], s[0:1]
; %bb.98:                               ;   in Loop: Header=BB0_3 Depth=1
	v_or_b32_e32 v48, 0x10000, v49
	v_cmp_eq_u32_sdwa s[0:1], v49, v32 src0_sel:WORD_0 src1_sel:DWORD
	v_cndmask_b32_e64 v48, v48, v49, s[0:1]
; %bb.99:                               ;   in Loop: Header=BB0_3 Depth=1
	s_or_b64 exec, exec, s[30:31]
	v_lshlrev_b32_e32 v49, 16, v50
	v_add_f32_e32 v53, 0xc3080000, v49
	v_and_b32_e32 v49, 0x7f800000, v53
	v_cmp_ne_u32_e64 s[0:1], s6, v49
                                        ; implicit-def: $vgpr49
	s_and_saveexec_b64 s[30:31], s[0:1]
	s_xor_b64 s[0:1], exec, s[30:31]
; %bb.100:                              ;   in Loop: Header=BB0_3 Depth=1
	v_bfe_u32 v49, v53, 16, 1
	v_add3_u32 v49, v53, v49, s34
                                        ; implicit-def: $vgpr53
; %bb.101:                              ;   in Loop: Header=BB0_3 Depth=1
	s_andn2_saveexec_b64 s[30:31], s[0:1]
; %bb.102:                              ;   in Loop: Header=BB0_3 Depth=1
	v_or_b32_e32 v49, 0x10000, v53
	v_cmp_eq_u32_sdwa s[0:1], v53, v32 src0_sel:WORD_0 src1_sel:DWORD
	v_cndmask_b32_e64 v49, v49, v53, s[0:1]
; %bb.103:                              ;   in Loop: Header=BB0_3 Depth=1
	s_or_b64 exec, exec, s[30:31]
	v_and_b32_e32 v50, 0xffff0000, v50
	v_add_f32_e32 v53, 0xc3080000, v50
	v_and_b32_e32 v50, 0x7f800000, v53
	v_cmp_ne_u32_e64 s[0:1], s6, v50
                                        ; implicit-def: $vgpr50
	s_and_saveexec_b64 s[30:31], s[0:1]
	s_xor_b64 s[0:1], exec, s[30:31]
; %bb.104:                              ;   in Loop: Header=BB0_3 Depth=1
	v_bfe_u32 v50, v53, 16, 1
	v_add3_u32 v50, v53, v50, s34
                                        ; implicit-def: $vgpr53
; %bb.105:                              ;   in Loop: Header=BB0_3 Depth=1
	s_andn2_saveexec_b64 s[30:31], s[0:1]
; %bb.106:                              ;   in Loop: Header=BB0_3 Depth=1
	v_or_b32_e32 v50, 0x10000, v53
	v_cmp_eq_u32_sdwa s[0:1], v53, v32 src0_sel:WORD_0 src1_sel:DWORD
	v_cndmask_b32_e64 v50, v50, v53, s[0:1]
; %bb.107:                              ;   in Loop: Header=BB0_3 Depth=1
	s_or_b64 exec, exec, s[30:31]
	v_and_b32_e32 v54, 0xffff0000, v52
	s_waitcnt vmcnt(2)
	v_lshlrev_b32_e32 v53, 16, v42
	v_and_b32_e32 v52, 0xffff0000, v42
	v_fma_f32 v54, v54, v53, v52
	v_and_b32_e32 v42, 0x7f800000, v54
	v_cmp_ne_u32_e64 s[0:1], s6, v42
                                        ; implicit-def: $vgpr42
	s_and_saveexec_b64 s[30:31], s[0:1]
	s_xor_b64 s[0:1], exec, s[30:31]
; %bb.108:                              ;   in Loop: Header=BB0_3 Depth=1
	v_bfe_u32 v42, v54, 16, 1
	v_add3_u32 v42, v54, v42, s34
                                        ; implicit-def: $vgpr54
; %bb.109:                              ;   in Loop: Header=BB0_3 Depth=1
	s_andn2_saveexec_b64 s[30:31], s[0:1]
; %bb.110:                              ;   in Loop: Header=BB0_3 Depth=1
	v_or_b32_e32 v42, 0x10000, v54
	v_cmp_eq_u32_sdwa s[0:1], v54, v32 src0_sel:WORD_0 src1_sel:DWORD
	v_cndmask_b32_e64 v42, v42, v54, s[0:1]
; %bb.111:                              ;   in Loop: Header=BB0_3 Depth=1
	s_or_b64 exec, exec, s[30:31]
	v_and_b32_e32 v44, 0xffff0000, v44
	v_fma_f32 v54, v44, v53, v52
	v_and_b32_e32 v44, 0x7f800000, v54
	v_cmp_ne_u32_e64 s[0:1], s6, v44
                                        ; implicit-def: $vgpr44
	s_and_saveexec_b64 s[30:31], s[0:1]
	s_xor_b64 s[0:1], exec, s[30:31]
; %bb.112:                              ;   in Loop: Header=BB0_3 Depth=1
	v_bfe_u32 v44, v54, 16, 1
	v_add3_u32 v44, v54, v44, s34
                                        ; implicit-def: $vgpr54
; %bb.113:                              ;   in Loop: Header=BB0_3 Depth=1
	s_andn2_saveexec_b64 s[30:31], s[0:1]
; %bb.114:                              ;   in Loop: Header=BB0_3 Depth=1
	v_or_b32_e32 v44, 0x10000, v54
	v_cmp_eq_u32_sdwa s[0:1], v54, v32 src0_sel:WORD_0 src1_sel:DWORD
	v_cndmask_b32_e64 v44, v44, v54, s[0:1]
; %bb.115:                              ;   in Loop: Header=BB0_3 Depth=1
	s_or_b64 exec, exec, s[30:31]
	v_and_b32_e32 v45, 0xffff0000, v45
	v_fma_f32 v54, v45, v53, v52
	v_and_b32_e32 v45, 0x7f800000, v54
	v_cmp_ne_u32_e64 s[0:1], s6, v45
                                        ; implicit-def: $vgpr45
	s_and_saveexec_b64 s[30:31], s[0:1]
	s_xor_b64 s[0:1], exec, s[30:31]
; %bb.116:                              ;   in Loop: Header=BB0_3 Depth=1
	v_bfe_u32 v45, v54, 16, 1
	v_add3_u32 v45, v54, v45, s34
                                        ; implicit-def: $vgpr54
; %bb.117:                              ;   in Loop: Header=BB0_3 Depth=1
	s_andn2_saveexec_b64 s[30:31], s[0:1]
; %bb.118:                              ;   in Loop: Header=BB0_3 Depth=1
	v_or_b32_e32 v45, 0x10000, v54
	v_cmp_eq_u32_sdwa s[0:1], v54, v32 src0_sel:WORD_0 src1_sel:DWORD
	v_cndmask_b32_e64 v45, v45, v54, s[0:1]
; %bb.119:                              ;   in Loop: Header=BB0_3 Depth=1
	s_or_b64 exec, exec, s[30:31]
	v_and_b32_e32 v46, 0xffff0000, v46
	v_fma_f32 v54, v46, v53, v52
	v_and_b32_e32 v46, 0x7f800000, v54
	v_cmp_ne_u32_e64 s[0:1], s6, v46
                                        ; implicit-def: $vgpr46
	s_and_saveexec_b64 s[30:31], s[0:1]
	s_xor_b64 s[0:1], exec, s[30:31]
; %bb.120:                              ;   in Loop: Header=BB0_3 Depth=1
	v_bfe_u32 v46, v54, 16, 1
	v_add3_u32 v46, v54, v46, s34
                                        ; implicit-def: $vgpr54
; %bb.121:                              ;   in Loop: Header=BB0_3 Depth=1
	s_andn2_saveexec_b64 s[30:31], s[0:1]
; %bb.122:                              ;   in Loop: Header=BB0_3 Depth=1
	v_or_b32_e32 v46, 0x10000, v54
	v_cmp_eq_u32_sdwa s[0:1], v54, v32 src0_sel:WORD_0 src1_sel:DWORD
	v_cndmask_b32_e64 v46, v46, v54, s[0:1]
; %bb.123:                              ;   in Loop: Header=BB0_3 Depth=1
	s_or_b64 exec, exec, s[30:31]
	v_and_b32_e32 v47, 0xffff0000, v47
	v_fma_f32 v54, v47, v53, v52
	v_and_b32_e32 v47, 0x7f800000, v54
	v_cmp_ne_u32_e64 s[0:1], s6, v47
                                        ; implicit-def: $vgpr47
	s_and_saveexec_b64 s[30:31], s[0:1]
	s_xor_b64 s[0:1], exec, s[30:31]
; %bb.124:                              ;   in Loop: Header=BB0_3 Depth=1
	v_bfe_u32 v47, v54, 16, 1
	v_add3_u32 v47, v54, v47, s34
                                        ; implicit-def: $vgpr54
; %bb.125:                              ;   in Loop: Header=BB0_3 Depth=1
	s_andn2_saveexec_b64 s[30:31], s[0:1]
; %bb.126:                              ;   in Loop: Header=BB0_3 Depth=1
	v_or_b32_e32 v47, 0x10000, v54
	v_cmp_eq_u32_sdwa s[0:1], v54, v32 src0_sel:WORD_0 src1_sel:DWORD
	v_cndmask_b32_e64 v47, v47, v54, s[0:1]
; %bb.127:                              ;   in Loop: Header=BB0_3 Depth=1
	s_or_b64 exec, exec, s[30:31]
	v_and_b32_e32 v48, 0xffff0000, v48
	v_fma_f32 v54, v48, v53, v52
	v_and_b32_e32 v48, 0x7f800000, v54
	v_cmp_ne_u32_e64 s[0:1], s6, v48
                                        ; implicit-def: $vgpr48
	s_and_saveexec_b64 s[30:31], s[0:1]
	s_xor_b64 s[0:1], exec, s[30:31]
; %bb.128:                              ;   in Loop: Header=BB0_3 Depth=1
	v_bfe_u32 v48, v54, 16, 1
	v_add3_u32 v48, v54, v48, s34
                                        ; implicit-def: $vgpr54
; %bb.129:                              ;   in Loop: Header=BB0_3 Depth=1
	s_andn2_saveexec_b64 s[30:31], s[0:1]
; %bb.130:                              ;   in Loop: Header=BB0_3 Depth=1
	v_or_b32_e32 v48, 0x10000, v54
	v_cmp_eq_u32_sdwa s[0:1], v54, v32 src0_sel:WORD_0 src1_sel:DWORD
	v_cndmask_b32_e64 v48, v48, v54, s[0:1]
; %bb.131:                              ;   in Loop: Header=BB0_3 Depth=1
	s_or_b64 exec, exec, s[30:31]
	v_and_b32_e32 v49, 0xffff0000, v49
	v_fma_f32 v54, v49, v53, v52
	v_and_b32_e32 v49, 0x7f800000, v54
	v_cmp_ne_u32_e64 s[0:1], s6, v49
                                        ; implicit-def: $vgpr49
	s_and_saveexec_b64 s[30:31], s[0:1]
	s_xor_b64 s[0:1], exec, s[30:31]
; %bb.132:                              ;   in Loop: Header=BB0_3 Depth=1
	v_bfe_u32 v49, v54, 16, 1
	v_add3_u32 v49, v54, v49, s34
                                        ; implicit-def: $vgpr54
; %bb.133:                              ;   in Loop: Header=BB0_3 Depth=1
	s_andn2_saveexec_b64 s[30:31], s[0:1]
; %bb.134:                              ;   in Loop: Header=BB0_3 Depth=1
	v_or_b32_e32 v49, 0x10000, v54
	v_cmp_eq_u32_sdwa s[0:1], v54, v32 src0_sel:WORD_0 src1_sel:DWORD
	v_cndmask_b32_e64 v49, v49, v54, s[0:1]
; %bb.135:                              ;   in Loop: Header=BB0_3 Depth=1
	s_or_b64 exec, exec, s[30:31]
	v_and_b32_e32 v50, 0xffff0000, v50
	v_fmac_f32_e32 v52, v50, v53
	v_and_b32_e32 v50, 0x7f800000, v52
	v_cmp_ne_u32_e64 s[0:1], s6, v50
                                        ; implicit-def: $vgpr50
	s_and_saveexec_b64 s[30:31], s[0:1]
	s_xor_b64 s[0:1], exec, s[30:31]
; %bb.136:                              ;   in Loop: Header=BB0_3 Depth=1
	v_bfe_u32 v50, v52, 16, 1
	v_add3_u32 v50, v52, v50, s34
                                        ; implicit-def: $vgpr52
; %bb.137:                              ;   in Loop: Header=BB0_3 Depth=1
	s_andn2_saveexec_b64 s[30:31], s[0:1]
; %bb.138:                              ;   in Loop: Header=BB0_3 Depth=1
	v_or_b32_e32 v50, 0x10000, v52
	v_cmp_eq_u32_sdwa s[0:1], v52, v32 src0_sel:WORD_0 src1_sel:DWORD
	v_cndmask_b32_e64 v50, v50, v52, s[0:1]
; %bb.139:                              ;   in Loop: Header=BB0_3 Depth=1
	s_or_b64 exec, exec, s[30:31]
	;;#ASMSTART
	v_and_or_b32 v52, v51, v33, v34
	;;#ASMEND
	v_lshrrev_b32_e32 v53, 4, v51
	v_lshrrev_b32_e32 v54, 8, v51
	;; [unrolled: 1-line block ×3, first 2 shown]
	;;#ASMSTART
	v_and_or_b32 v53, v53, v33, v34
	;;#ASMEND
	;;#ASMSTART
	v_and_or_b32 v55, v54, v33, v34
	;;#ASMEND
	;; [unrolled: 3-line block ×3, first 2 shown]
	v_lshlrev_b32_e32 v51, 16, v52
	v_add_f32_e32 v51, 0xc3080000, v51
	v_and_b32_e32 v54, 0x7f800000, v51
	v_cmp_ne_u32_e64 s[0:1], s6, v54
                                        ; implicit-def: $vgpr58
	s_and_saveexec_b64 s[30:31], s[0:1]
	s_xor_b64 s[0:1], exec, s[30:31]
; %bb.140:                              ;   in Loop: Header=BB0_3 Depth=1
	v_bfe_u32 v54, v51, 16, 1
	v_add3_u32 v58, v51, v54, s34
                                        ; implicit-def: $vgpr51
; %bb.141:                              ;   in Loop: Header=BB0_3 Depth=1
	s_andn2_saveexec_b64 s[30:31], s[0:1]
; %bb.142:                              ;   in Loop: Header=BB0_3 Depth=1
	v_or_b32_e32 v54, 0x10000, v51
	v_cmp_eq_u32_sdwa s[0:1], v51, v32 src0_sel:WORD_0 src1_sel:DWORD
	v_cndmask_b32_e64 v58, v54, v51, s[0:1]
; %bb.143:                              ;   in Loop: Header=BB0_3 Depth=1
	s_or_b64 exec, exec, s[30:31]
	v_and_b32_e32 v51, 0xffff0000, v52
	v_add_f32_e32 v52, 0xc3080000, v51
	v_and_b32_e32 v51, 0x7f800000, v52
	v_cmp_ne_u32_e64 s[0:1], s6, v51
                                        ; implicit-def: $vgpr51
	s_and_saveexec_b64 s[30:31], s[0:1]
	s_xor_b64 s[0:1], exec, s[30:31]
; %bb.144:                              ;   in Loop: Header=BB0_3 Depth=1
	v_bfe_u32 v51, v52, 16, 1
	v_add3_u32 v51, v52, v51, s34
                                        ; implicit-def: $vgpr52
; %bb.145:                              ;   in Loop: Header=BB0_3 Depth=1
	s_andn2_saveexec_b64 s[30:31], s[0:1]
; %bb.146:                              ;   in Loop: Header=BB0_3 Depth=1
	v_or_b32_e32 v51, 0x10000, v52
	v_cmp_eq_u32_sdwa s[0:1], v52, v32 src0_sel:WORD_0 src1_sel:DWORD
	v_cndmask_b32_e64 v51, v51, v52, s[0:1]
; %bb.147:                              ;   in Loop: Header=BB0_3 Depth=1
	s_or_b64 exec, exec, s[30:31]
	v_lshlrev_b32_e32 v52, 16, v53
	v_add_f32_e32 v54, 0xc3080000, v52
	v_and_b32_e32 v52, 0x7f800000, v54
	v_cmp_ne_u32_e64 s[0:1], s6, v52
                                        ; implicit-def: $vgpr52
	s_and_saveexec_b64 s[30:31], s[0:1]
	s_xor_b64 s[0:1], exec, s[30:31]
; %bb.148:                              ;   in Loop: Header=BB0_3 Depth=1
	v_bfe_u32 v52, v54, 16, 1
	v_add3_u32 v52, v54, v52, s34
                                        ; implicit-def: $vgpr54
; %bb.149:                              ;   in Loop: Header=BB0_3 Depth=1
	s_andn2_saveexec_b64 s[30:31], s[0:1]
; %bb.150:                              ;   in Loop: Header=BB0_3 Depth=1
	v_or_b32_e32 v52, 0x10000, v54
	v_cmp_eq_u32_sdwa s[0:1], v54, v32 src0_sel:WORD_0 src1_sel:DWORD
	v_cndmask_b32_e64 v52, v52, v54, s[0:1]
; %bb.151:                              ;   in Loop: Header=BB0_3 Depth=1
	s_or_b64 exec, exec, s[30:31]
	v_and_b32_e32 v53, 0xffff0000, v53
	v_add_f32_e32 v54, 0xc3080000, v53
	v_and_b32_e32 v53, 0x7f800000, v54
	v_cmp_ne_u32_e64 s[0:1], s6, v53
                                        ; implicit-def: $vgpr53
	s_and_saveexec_b64 s[30:31], s[0:1]
	s_xor_b64 s[0:1], exec, s[30:31]
; %bb.152:                              ;   in Loop: Header=BB0_3 Depth=1
	v_bfe_u32 v53, v54, 16, 1
	v_add3_u32 v53, v54, v53, s34
                                        ; implicit-def: $vgpr54
; %bb.153:                              ;   in Loop: Header=BB0_3 Depth=1
	s_andn2_saveexec_b64 s[30:31], s[0:1]
; %bb.154:                              ;   in Loop: Header=BB0_3 Depth=1
	v_or_b32_e32 v53, 0x10000, v54
	v_cmp_eq_u32_sdwa s[0:1], v54, v32 src0_sel:WORD_0 src1_sel:DWORD
	v_cndmask_b32_e64 v53, v53, v54, s[0:1]
; %bb.155:                              ;   in Loop: Header=BB0_3 Depth=1
	s_or_b64 exec, exec, s[30:31]
	v_lshlrev_b32_e32 v54, 16, v55
	v_add_f32_e32 v56, 0xc3080000, v54
	v_and_b32_e32 v54, 0x7f800000, v56
	v_cmp_ne_u32_e64 s[0:1], s6, v54
                                        ; implicit-def: $vgpr54
	s_and_saveexec_b64 s[30:31], s[0:1]
	s_xor_b64 s[0:1], exec, s[30:31]
; %bb.156:                              ;   in Loop: Header=BB0_3 Depth=1
	v_bfe_u32 v54, v56, 16, 1
	v_add3_u32 v54, v56, v54, s34
                                        ; implicit-def: $vgpr56
; %bb.157:                              ;   in Loop: Header=BB0_3 Depth=1
	s_andn2_saveexec_b64 s[30:31], s[0:1]
; %bb.158:                              ;   in Loop: Header=BB0_3 Depth=1
	v_or_b32_e32 v54, 0x10000, v56
	v_cmp_eq_u32_sdwa s[0:1], v56, v32 src0_sel:WORD_0 src1_sel:DWORD
	v_cndmask_b32_e64 v54, v54, v56, s[0:1]
; %bb.159:                              ;   in Loop: Header=BB0_3 Depth=1
	s_or_b64 exec, exec, s[30:31]
	v_and_b32_e32 v55, 0xffff0000, v55
	v_add_f32_e32 v56, 0xc3080000, v55
	v_and_b32_e32 v55, 0x7f800000, v56
	v_cmp_ne_u32_e64 s[0:1], s6, v55
                                        ; implicit-def: $vgpr55
	s_and_saveexec_b64 s[30:31], s[0:1]
	s_xor_b64 s[0:1], exec, s[30:31]
; %bb.160:                              ;   in Loop: Header=BB0_3 Depth=1
	v_bfe_u32 v55, v56, 16, 1
	v_add3_u32 v55, v56, v55, s34
                                        ; implicit-def: $vgpr56
; %bb.161:                              ;   in Loop: Header=BB0_3 Depth=1
	s_andn2_saveexec_b64 s[30:31], s[0:1]
; %bb.162:                              ;   in Loop: Header=BB0_3 Depth=1
	v_or_b32_e32 v55, 0x10000, v56
	v_cmp_eq_u32_sdwa s[0:1], v56, v32 src0_sel:WORD_0 src1_sel:DWORD
	v_cndmask_b32_e64 v55, v55, v56, s[0:1]
; %bb.163:                              ;   in Loop: Header=BB0_3 Depth=1
	s_or_b64 exec, exec, s[30:31]
	v_lshlrev_b32_e32 v56, 16, v57
	v_add_f32_e32 v59, 0xc3080000, v56
	v_and_b32_e32 v56, 0x7f800000, v59
	v_cmp_ne_u32_e64 s[0:1], s6, v56
                                        ; implicit-def: $vgpr56
	s_and_saveexec_b64 s[30:31], s[0:1]
	s_xor_b64 s[0:1], exec, s[30:31]
; %bb.164:                              ;   in Loop: Header=BB0_3 Depth=1
	v_bfe_u32 v56, v59, 16, 1
	v_add3_u32 v56, v59, v56, s34
                                        ; implicit-def: $vgpr59
; %bb.165:                              ;   in Loop: Header=BB0_3 Depth=1
	s_andn2_saveexec_b64 s[30:31], s[0:1]
; %bb.166:                              ;   in Loop: Header=BB0_3 Depth=1
	v_or_b32_e32 v56, 0x10000, v59
	v_cmp_eq_u32_sdwa s[0:1], v59, v32 src0_sel:WORD_0 src1_sel:DWORD
	v_cndmask_b32_e64 v56, v56, v59, s[0:1]
; %bb.167:                              ;   in Loop: Header=BB0_3 Depth=1
	s_or_b64 exec, exec, s[30:31]
	v_and_b32_e32 v57, 0xffff0000, v57
	v_add_f32_e32 v59, 0xc3080000, v57
	v_and_b32_e32 v57, 0x7f800000, v59
	v_cmp_ne_u32_e64 s[0:1], s6, v57
                                        ; implicit-def: $vgpr57
	s_and_saveexec_b64 s[30:31], s[0:1]
	s_xor_b64 s[0:1], exec, s[30:31]
; %bb.168:                              ;   in Loop: Header=BB0_3 Depth=1
	v_bfe_u32 v57, v59, 16, 1
	v_add3_u32 v57, v59, v57, s34
                                        ; implicit-def: $vgpr59
; %bb.169:                              ;   in Loop: Header=BB0_3 Depth=1
	s_andn2_saveexec_b64 s[30:31], s[0:1]
; %bb.170:                              ;   in Loop: Header=BB0_3 Depth=1
	v_or_b32_e32 v57, 0x10000, v59
	v_cmp_eq_u32_sdwa s[0:1], v59, v32 src0_sel:WORD_0 src1_sel:DWORD
	v_cndmask_b32_e64 v57, v57, v59, s[0:1]
; %bb.171:                              ;   in Loop: Header=BB0_3 Depth=1
	s_or_b64 exec, exec, s[30:31]
	v_and_b32_e32 v60, 0xffff0000, v58
	s_waitcnt vmcnt(1)
	v_lshlrev_b32_e32 v59, 16, v43
	v_and_b32_e32 v58, 0xffff0000, v43
	v_fma_f32 v60, v60, v59, v58
	v_and_b32_e32 v43, 0x7f800000, v60
	v_cmp_ne_u32_e64 s[0:1], s6, v43
                                        ; implicit-def: $vgpr43
	s_and_saveexec_b64 s[30:31], s[0:1]
	s_xor_b64 s[0:1], exec, s[30:31]
; %bb.172:                              ;   in Loop: Header=BB0_3 Depth=1
	v_bfe_u32 v43, v60, 16, 1
	v_add3_u32 v43, v60, v43, s34
                                        ; implicit-def: $vgpr60
; %bb.173:                              ;   in Loop: Header=BB0_3 Depth=1
	s_andn2_saveexec_b64 s[30:31], s[0:1]
; %bb.174:                              ;   in Loop: Header=BB0_3 Depth=1
	v_or_b32_e32 v43, 0x10000, v60
	v_cmp_eq_u32_sdwa s[0:1], v60, v32 src0_sel:WORD_0 src1_sel:DWORD
	v_cndmask_b32_e64 v43, v43, v60, s[0:1]
; %bb.175:                              ;   in Loop: Header=BB0_3 Depth=1
	s_or_b64 exec, exec, s[30:31]
	v_and_b32_e32 v51, 0xffff0000, v51
	v_fma_f32 v60, v51, v59, v58
	v_and_b32_e32 v51, 0x7f800000, v60
	v_cmp_ne_u32_e64 s[0:1], s6, v51
                                        ; implicit-def: $vgpr51
	s_and_saveexec_b64 s[30:31], s[0:1]
	s_xor_b64 s[0:1], exec, s[30:31]
; %bb.176:                              ;   in Loop: Header=BB0_3 Depth=1
	v_bfe_u32 v51, v60, 16, 1
	v_add3_u32 v51, v60, v51, s34
                                        ; implicit-def: $vgpr60
; %bb.177:                              ;   in Loop: Header=BB0_3 Depth=1
	s_andn2_saveexec_b64 s[30:31], s[0:1]
; %bb.178:                              ;   in Loop: Header=BB0_3 Depth=1
	v_or_b32_e32 v51, 0x10000, v60
	v_cmp_eq_u32_sdwa s[0:1], v60, v32 src0_sel:WORD_0 src1_sel:DWORD
	v_cndmask_b32_e64 v51, v51, v60, s[0:1]
; %bb.179:                              ;   in Loop: Header=BB0_3 Depth=1
	s_or_b64 exec, exec, s[30:31]
	v_and_b32_e32 v52, 0xffff0000, v52
	v_fma_f32 v60, v52, v59, v58
	v_and_b32_e32 v52, 0x7f800000, v60
	v_cmp_ne_u32_e64 s[0:1], s6, v52
                                        ; implicit-def: $vgpr52
	s_and_saveexec_b64 s[30:31], s[0:1]
	s_xor_b64 s[0:1], exec, s[30:31]
; %bb.180:                              ;   in Loop: Header=BB0_3 Depth=1
	v_bfe_u32 v52, v60, 16, 1
	v_add3_u32 v52, v60, v52, s34
                                        ; implicit-def: $vgpr60
; %bb.181:                              ;   in Loop: Header=BB0_3 Depth=1
	s_andn2_saveexec_b64 s[30:31], s[0:1]
; %bb.182:                              ;   in Loop: Header=BB0_3 Depth=1
	v_or_b32_e32 v52, 0x10000, v60
	v_cmp_eq_u32_sdwa s[0:1], v60, v32 src0_sel:WORD_0 src1_sel:DWORD
	v_cndmask_b32_e64 v52, v52, v60, s[0:1]
; %bb.183:                              ;   in Loop: Header=BB0_3 Depth=1
	s_or_b64 exec, exec, s[30:31]
	v_and_b32_e32 v53, 0xffff0000, v53
	v_fma_f32 v60, v53, v59, v58
	v_and_b32_e32 v53, 0x7f800000, v60
	v_cmp_ne_u32_e64 s[0:1], s6, v53
                                        ; implicit-def: $vgpr53
	s_and_saveexec_b64 s[30:31], s[0:1]
	s_xor_b64 s[0:1], exec, s[30:31]
; %bb.184:                              ;   in Loop: Header=BB0_3 Depth=1
	v_bfe_u32 v53, v60, 16, 1
	v_add3_u32 v53, v60, v53, s34
                                        ; implicit-def: $vgpr60
; %bb.185:                              ;   in Loop: Header=BB0_3 Depth=1
	s_andn2_saveexec_b64 s[30:31], s[0:1]
; %bb.186:                              ;   in Loop: Header=BB0_3 Depth=1
	v_or_b32_e32 v53, 0x10000, v60
	v_cmp_eq_u32_sdwa s[0:1], v60, v32 src0_sel:WORD_0 src1_sel:DWORD
	v_cndmask_b32_e64 v53, v53, v60, s[0:1]
; %bb.187:                              ;   in Loop: Header=BB0_3 Depth=1
	s_or_b64 exec, exec, s[30:31]
	v_and_b32_e32 v54, 0xffff0000, v54
	v_fma_f32 v60, v54, v59, v58
	v_and_b32_e32 v54, 0x7f800000, v60
	v_cmp_ne_u32_e64 s[0:1], s6, v54
                                        ; implicit-def: $vgpr54
	s_and_saveexec_b64 s[30:31], s[0:1]
	s_xor_b64 s[0:1], exec, s[30:31]
; %bb.188:                              ;   in Loop: Header=BB0_3 Depth=1
	v_bfe_u32 v54, v60, 16, 1
	v_add3_u32 v54, v60, v54, s34
                                        ; implicit-def: $vgpr60
; %bb.189:                              ;   in Loop: Header=BB0_3 Depth=1
	s_andn2_saveexec_b64 s[30:31], s[0:1]
; %bb.190:                              ;   in Loop: Header=BB0_3 Depth=1
	v_or_b32_e32 v54, 0x10000, v60
	v_cmp_eq_u32_sdwa s[0:1], v60, v32 src0_sel:WORD_0 src1_sel:DWORD
	v_cndmask_b32_e64 v54, v54, v60, s[0:1]
; %bb.191:                              ;   in Loop: Header=BB0_3 Depth=1
	s_or_b64 exec, exec, s[30:31]
	v_and_b32_e32 v55, 0xffff0000, v55
	v_fma_f32 v60, v55, v59, v58
	v_and_b32_e32 v55, 0x7f800000, v60
	v_cmp_ne_u32_e64 s[0:1], s6, v55
                                        ; implicit-def: $vgpr55
	s_and_saveexec_b64 s[30:31], s[0:1]
	s_xor_b64 s[0:1], exec, s[30:31]
; %bb.192:                              ;   in Loop: Header=BB0_3 Depth=1
	v_bfe_u32 v55, v60, 16, 1
	v_add3_u32 v55, v60, v55, s34
                                        ; implicit-def: $vgpr60
; %bb.193:                              ;   in Loop: Header=BB0_3 Depth=1
	s_andn2_saveexec_b64 s[30:31], s[0:1]
; %bb.194:                              ;   in Loop: Header=BB0_3 Depth=1
	v_or_b32_e32 v55, 0x10000, v60
	v_cmp_eq_u32_sdwa s[0:1], v60, v32 src0_sel:WORD_0 src1_sel:DWORD
	v_cndmask_b32_e64 v55, v55, v60, s[0:1]
; %bb.195:                              ;   in Loop: Header=BB0_3 Depth=1
	s_or_b64 exec, exec, s[30:31]
	v_and_b32_e32 v56, 0xffff0000, v56
	v_fma_f32 v60, v56, v59, v58
	v_and_b32_e32 v56, 0x7f800000, v60
	v_cmp_ne_u32_e64 s[0:1], s6, v56
                                        ; implicit-def: $vgpr56
	s_and_saveexec_b64 s[30:31], s[0:1]
	s_xor_b64 s[0:1], exec, s[30:31]
; %bb.196:                              ;   in Loop: Header=BB0_3 Depth=1
	v_bfe_u32 v56, v60, 16, 1
	v_add3_u32 v56, v60, v56, s34
                                        ; implicit-def: $vgpr60
; %bb.197:                              ;   in Loop: Header=BB0_3 Depth=1
	s_andn2_saveexec_b64 s[30:31], s[0:1]
; %bb.198:                              ;   in Loop: Header=BB0_3 Depth=1
	v_or_b32_e32 v56, 0x10000, v60
	v_cmp_eq_u32_sdwa s[0:1], v60, v32 src0_sel:WORD_0 src1_sel:DWORD
	v_cndmask_b32_e64 v56, v56, v60, s[0:1]
; %bb.199:                              ;   in Loop: Header=BB0_3 Depth=1
	s_or_b64 exec, exec, s[30:31]
	v_and_b32_e32 v57, 0xffff0000, v57
	v_fmac_f32_e32 v58, v57, v59
	v_and_b32_e32 v57, 0x7f800000, v58
	v_cmp_ne_u32_e64 s[0:1], s6, v57
                                        ; implicit-def: $vgpr57
	s_and_saveexec_b64 s[30:31], s[0:1]
	s_xor_b64 s[0:1], exec, s[30:31]
; %bb.200:                              ;   in Loop: Header=BB0_3 Depth=1
	v_bfe_u32 v57, v58, 16, 1
	v_add3_u32 v57, v58, v57, s34
                                        ; implicit-def: $vgpr58
; %bb.201:                              ;   in Loop: Header=BB0_3 Depth=1
	s_andn2_saveexec_b64 s[30:31], s[0:1]
; %bb.202:                              ;   in Loop: Header=BB0_3 Depth=1
	v_or_b32_e32 v57, 0x10000, v58
	v_cmp_eq_u32_sdwa s[0:1], v58, v32 src0_sel:WORD_0 src1_sel:DWORD
	v_cndmask_b32_e64 v57, v57, v58, s[0:1]
; %bb.203:                              ;   in Loop: Header=BB0_3 Depth=1
	s_or_b64 exec, exec, s[30:31]
	v_lshrrev_b32_e32 v58, 4, v41
	;;#ASMSTART
	v_and_or_b32 v59, v41, v33, v34
	;;#ASMEND
	;;#ASMSTART
	v_and_or_b32 v60, v58, v33, v34
	;;#ASMEND
	v_lshrrev_b32_e32 v58, 8, v41
	v_lshrrev_b32_e32 v41, 12, v41
	;;#ASMSTART
	v_and_or_b32 v62, v58, v33, v34
	;;#ASMEND
	;;#ASMSTART
	v_and_or_b32 v64, v41, v33, v34
	;;#ASMEND
	v_lshlrev_b32_e32 v41, 16, v59
	v_add_f32_e32 v41, 0xc3080000, v41
	v_and_b32_e32 v58, 0x7f800000, v41
	v_cmp_ne_u32_e64 s[0:1], s6, v58
                                        ; implicit-def: $vgpr58
	s_and_saveexec_b64 s[30:31], s[0:1]
	s_xor_b64 s[0:1], exec, s[30:31]
; %bb.204:                              ;   in Loop: Header=BB0_3 Depth=1
	v_bfe_u32 v58, v41, 16, 1
	v_add3_u32 v58, v41, v58, s34
                                        ; implicit-def: $vgpr41
; %bb.205:                              ;   in Loop: Header=BB0_3 Depth=1
	s_andn2_saveexec_b64 s[30:31], s[0:1]
; %bb.206:                              ;   in Loop: Header=BB0_3 Depth=1
	v_or_b32_e32 v58, 0x10000, v41
	v_cmp_eq_u32_sdwa s[0:1], v41, v32 src0_sel:WORD_0 src1_sel:DWORD
	v_cndmask_b32_e64 v58, v58, v41, s[0:1]
; %bb.207:                              ;   in Loop: Header=BB0_3 Depth=1
	s_or_b64 exec, exec, s[30:31]
	v_and_b32_e32 v41, 0xffff0000, v59
	v_add_f32_e32 v59, 0xc3080000, v41
	v_and_b32_e32 v41, 0x7f800000, v59
	v_cmp_ne_u32_e64 s[0:1], s6, v41
                                        ; implicit-def: $vgpr41
	s_and_saveexec_b64 s[30:31], s[0:1]
	s_xor_b64 s[0:1], exec, s[30:31]
; %bb.208:                              ;   in Loop: Header=BB0_3 Depth=1
	v_bfe_u32 v41, v59, 16, 1
	v_add3_u32 v41, v59, v41, s34
                                        ; implicit-def: $vgpr59
; %bb.209:                              ;   in Loop: Header=BB0_3 Depth=1
	s_andn2_saveexec_b64 s[30:31], s[0:1]
; %bb.210:                              ;   in Loop: Header=BB0_3 Depth=1
	v_or_b32_e32 v41, 0x10000, v59
	v_cmp_eq_u32_sdwa s[0:1], v59, v32 src0_sel:WORD_0 src1_sel:DWORD
	v_cndmask_b32_e64 v41, v41, v59, s[0:1]
; %bb.211:                              ;   in Loop: Header=BB0_3 Depth=1
	s_or_b64 exec, exec, s[30:31]
	v_lshlrev_b32_e32 v59, 16, v60
	v_add_f32_e32 v61, 0xc3080000, v59
	v_and_b32_e32 v59, 0x7f800000, v61
	v_cmp_ne_u32_e64 s[0:1], s6, v59
                                        ; implicit-def: $vgpr59
	s_and_saveexec_b64 s[30:31], s[0:1]
	s_xor_b64 s[0:1], exec, s[30:31]
; %bb.212:                              ;   in Loop: Header=BB0_3 Depth=1
	v_bfe_u32 v59, v61, 16, 1
	v_add3_u32 v59, v61, v59, s34
                                        ; implicit-def: $vgpr61
; %bb.213:                              ;   in Loop: Header=BB0_3 Depth=1
	s_andn2_saveexec_b64 s[30:31], s[0:1]
; %bb.214:                              ;   in Loop: Header=BB0_3 Depth=1
	v_or_b32_e32 v59, 0x10000, v61
	v_cmp_eq_u32_sdwa s[0:1], v61, v32 src0_sel:WORD_0 src1_sel:DWORD
	v_cndmask_b32_e64 v59, v59, v61, s[0:1]
; %bb.215:                              ;   in Loop: Header=BB0_3 Depth=1
	s_or_b64 exec, exec, s[30:31]
	v_and_b32_e32 v60, 0xffff0000, v60
	v_add_f32_e32 v61, 0xc3080000, v60
	v_and_b32_e32 v60, 0x7f800000, v61
	v_cmp_ne_u32_e64 s[0:1], s6, v60
                                        ; implicit-def: $vgpr60
	s_and_saveexec_b64 s[30:31], s[0:1]
	s_xor_b64 s[0:1], exec, s[30:31]
; %bb.216:                              ;   in Loop: Header=BB0_3 Depth=1
	v_bfe_u32 v60, v61, 16, 1
	v_add3_u32 v60, v61, v60, s34
                                        ; implicit-def: $vgpr61
; %bb.217:                              ;   in Loop: Header=BB0_3 Depth=1
	s_andn2_saveexec_b64 s[30:31], s[0:1]
; %bb.218:                              ;   in Loop: Header=BB0_3 Depth=1
	v_or_b32_e32 v60, 0x10000, v61
	v_cmp_eq_u32_sdwa s[0:1], v61, v32 src0_sel:WORD_0 src1_sel:DWORD
	v_cndmask_b32_e64 v60, v60, v61, s[0:1]
; %bb.219:                              ;   in Loop: Header=BB0_3 Depth=1
	s_or_b64 exec, exec, s[30:31]
	v_lshlrev_b32_e32 v61, 16, v62
	v_add_f32_e32 v63, 0xc3080000, v61
	v_and_b32_e32 v61, 0x7f800000, v63
	v_cmp_ne_u32_e64 s[0:1], s6, v61
                                        ; implicit-def: $vgpr61
	s_and_saveexec_b64 s[30:31], s[0:1]
	s_xor_b64 s[0:1], exec, s[30:31]
; %bb.220:                              ;   in Loop: Header=BB0_3 Depth=1
	v_bfe_u32 v61, v63, 16, 1
	v_add3_u32 v61, v63, v61, s34
                                        ; implicit-def: $vgpr63
; %bb.221:                              ;   in Loop: Header=BB0_3 Depth=1
	s_andn2_saveexec_b64 s[30:31], s[0:1]
; %bb.222:                              ;   in Loop: Header=BB0_3 Depth=1
	v_or_b32_e32 v61, 0x10000, v63
	v_cmp_eq_u32_sdwa s[0:1], v63, v32 src0_sel:WORD_0 src1_sel:DWORD
	v_cndmask_b32_e64 v61, v61, v63, s[0:1]
; %bb.223:                              ;   in Loop: Header=BB0_3 Depth=1
	s_or_b64 exec, exec, s[30:31]
	v_and_b32_e32 v62, 0xffff0000, v62
	v_add_f32_e32 v63, 0xc3080000, v62
	v_and_b32_e32 v62, 0x7f800000, v63
	v_cmp_ne_u32_e64 s[0:1], s6, v62
                                        ; implicit-def: $vgpr62
	s_and_saveexec_b64 s[30:31], s[0:1]
	s_xor_b64 s[0:1], exec, s[30:31]
; %bb.224:                              ;   in Loop: Header=BB0_3 Depth=1
	v_bfe_u32 v62, v63, 16, 1
	v_add3_u32 v62, v63, v62, s34
                                        ; implicit-def: $vgpr63
; %bb.225:                              ;   in Loop: Header=BB0_3 Depth=1
	s_andn2_saveexec_b64 s[30:31], s[0:1]
; %bb.226:                              ;   in Loop: Header=BB0_3 Depth=1
	v_or_b32_e32 v62, 0x10000, v63
	v_cmp_eq_u32_sdwa s[0:1], v63, v32 src0_sel:WORD_0 src1_sel:DWORD
	v_cndmask_b32_e64 v62, v62, v63, s[0:1]
; %bb.227:                              ;   in Loop: Header=BB0_3 Depth=1
	s_or_b64 exec, exec, s[30:31]
	v_lshlrev_b32_e32 v63, 16, v64
	v_add_f32_e32 v65, 0xc3080000, v63
	v_and_b32_e32 v63, 0x7f800000, v65
	v_cmp_ne_u32_e64 s[0:1], s6, v63
                                        ; implicit-def: $vgpr63
	s_and_saveexec_b64 s[30:31], s[0:1]
	s_xor_b64 s[0:1], exec, s[30:31]
; %bb.228:                              ;   in Loop: Header=BB0_3 Depth=1
	v_bfe_u32 v63, v65, 16, 1
	v_add3_u32 v63, v65, v63, s34
                                        ; implicit-def: $vgpr65
; %bb.229:                              ;   in Loop: Header=BB0_3 Depth=1
	s_andn2_saveexec_b64 s[30:31], s[0:1]
; %bb.230:                              ;   in Loop: Header=BB0_3 Depth=1
	v_or_b32_e32 v63, 0x10000, v65
	v_cmp_eq_u32_sdwa s[0:1], v65, v32 src0_sel:WORD_0 src1_sel:DWORD
	v_cndmask_b32_e64 v63, v63, v65, s[0:1]
; %bb.231:                              ;   in Loop: Header=BB0_3 Depth=1
	s_or_b64 exec, exec, s[30:31]
	v_and_b32_e32 v64, 0xffff0000, v64
	v_add_f32_e32 v65, 0xc3080000, v64
	v_and_b32_e32 v64, 0x7f800000, v65
	v_cmp_ne_u32_e64 s[0:1], s6, v64
                                        ; implicit-def: $vgpr64
	s_and_saveexec_b64 s[30:31], s[0:1]
	s_xor_b64 s[0:1], exec, s[30:31]
; %bb.232:                              ;   in Loop: Header=BB0_3 Depth=1
	v_bfe_u32 v64, v65, 16, 1
	v_add3_u32 v64, v65, v64, s34
                                        ; implicit-def: $vgpr65
; %bb.233:                              ;   in Loop: Header=BB0_3 Depth=1
	s_andn2_saveexec_b64 s[30:31], s[0:1]
; %bb.234:                              ;   in Loop: Header=BB0_3 Depth=1
	v_or_b32_e32 v64, 0x10000, v65
	v_cmp_eq_u32_sdwa s[0:1], v65, v32 src0_sel:WORD_0 src1_sel:DWORD
	v_cndmask_b32_e64 v64, v64, v65, s[0:1]
; %bb.235:                              ;   in Loop: Header=BB0_3 Depth=1
	s_or_b64 exec, exec, s[30:31]
	v_and_b32_e32 v66, 0xffff0000, v58
	s_waitcnt vmcnt(0)
	v_lshlrev_b32_e32 v65, 16, v5
	v_and_b32_e32 v58, 0xffff0000, v5
	v_fma_f32 v66, v66, v65, v58
	v_and_b32_e32 v5, 0x7f800000, v66
	v_cmp_ne_u32_e64 s[0:1], s6, v5
                                        ; implicit-def: $vgpr5
	s_and_saveexec_b64 s[30:31], s[0:1]
	s_xor_b64 s[0:1], exec, s[30:31]
; %bb.236:                              ;   in Loop: Header=BB0_3 Depth=1
	v_bfe_u32 v5, v66, 16, 1
	v_add3_u32 v5, v66, v5, s34
                                        ; implicit-def: $vgpr66
; %bb.237:                              ;   in Loop: Header=BB0_3 Depth=1
	s_andn2_saveexec_b64 s[30:31], s[0:1]
; %bb.238:                              ;   in Loop: Header=BB0_3 Depth=1
	v_or_b32_e32 v5, 0x10000, v66
	v_cmp_eq_u32_sdwa s[0:1], v66, v32 src0_sel:WORD_0 src1_sel:DWORD
	v_cndmask_b32_e64 v5, v5, v66, s[0:1]
; %bb.239:                              ;   in Loop: Header=BB0_3 Depth=1
	s_or_b64 exec, exec, s[30:31]
	v_and_b32_e32 v41, 0xffff0000, v41
	v_fma_f32 v66, v41, v65, v58
	v_and_b32_e32 v41, 0x7f800000, v66
	v_cmp_ne_u32_e64 s[0:1], s6, v41
                                        ; implicit-def: $vgpr41
	s_and_saveexec_b64 s[30:31], s[0:1]
	s_xor_b64 s[0:1], exec, s[30:31]
; %bb.240:                              ;   in Loop: Header=BB0_3 Depth=1
	v_bfe_u32 v41, v66, 16, 1
	v_add3_u32 v41, v66, v41, s34
                                        ; implicit-def: $vgpr66
; %bb.241:                              ;   in Loop: Header=BB0_3 Depth=1
	s_andn2_saveexec_b64 s[30:31], s[0:1]
; %bb.242:                              ;   in Loop: Header=BB0_3 Depth=1
	v_or_b32_e32 v41, 0x10000, v66
	v_cmp_eq_u32_sdwa s[0:1], v66, v32 src0_sel:WORD_0 src1_sel:DWORD
	v_cndmask_b32_e64 v41, v41, v66, s[0:1]
; %bb.243:                              ;   in Loop: Header=BB0_3 Depth=1
	s_or_b64 exec, exec, s[30:31]
	v_and_b32_e32 v59, 0xffff0000, v59
	v_fma_f32 v66, v59, v65, v58
	v_and_b32_e32 v59, 0x7f800000, v66
	v_cmp_ne_u32_e64 s[0:1], s6, v59
                                        ; implicit-def: $vgpr59
	s_and_saveexec_b64 s[30:31], s[0:1]
	s_xor_b64 s[0:1], exec, s[30:31]
; %bb.244:                              ;   in Loop: Header=BB0_3 Depth=1
	v_bfe_u32 v59, v66, 16, 1
	v_add3_u32 v59, v66, v59, s34
                                        ; implicit-def: $vgpr66
; %bb.245:                              ;   in Loop: Header=BB0_3 Depth=1
	s_andn2_saveexec_b64 s[30:31], s[0:1]
; %bb.246:                              ;   in Loop: Header=BB0_3 Depth=1
	v_or_b32_e32 v59, 0x10000, v66
	v_cmp_eq_u32_sdwa s[0:1], v66, v32 src0_sel:WORD_0 src1_sel:DWORD
	v_cndmask_b32_e64 v59, v59, v66, s[0:1]
; %bb.247:                              ;   in Loop: Header=BB0_3 Depth=1
	s_or_b64 exec, exec, s[30:31]
	v_and_b32_e32 v60, 0xffff0000, v60
	v_fma_f32 v66, v60, v65, v58
	v_and_b32_e32 v60, 0x7f800000, v66
	v_cmp_ne_u32_e64 s[0:1], s6, v60
                                        ; implicit-def: $vgpr60
	s_and_saveexec_b64 s[30:31], s[0:1]
	s_xor_b64 s[0:1], exec, s[30:31]
; %bb.248:                              ;   in Loop: Header=BB0_3 Depth=1
	v_bfe_u32 v60, v66, 16, 1
	v_add3_u32 v60, v66, v60, s34
                                        ; implicit-def: $vgpr66
; %bb.249:                              ;   in Loop: Header=BB0_3 Depth=1
	s_andn2_saveexec_b64 s[30:31], s[0:1]
; %bb.250:                              ;   in Loop: Header=BB0_3 Depth=1
	v_or_b32_e32 v60, 0x10000, v66
	v_cmp_eq_u32_sdwa s[0:1], v66, v32 src0_sel:WORD_0 src1_sel:DWORD
	v_cndmask_b32_e64 v60, v60, v66, s[0:1]
; %bb.251:                              ;   in Loop: Header=BB0_3 Depth=1
	s_or_b64 exec, exec, s[30:31]
	v_and_b32_e32 v61, 0xffff0000, v61
	v_fma_f32 v66, v61, v65, v58
	v_and_b32_e32 v61, 0x7f800000, v66
	v_cmp_ne_u32_e64 s[0:1], s6, v61
                                        ; implicit-def: $vgpr61
	s_and_saveexec_b64 s[30:31], s[0:1]
	s_xor_b64 s[0:1], exec, s[30:31]
; %bb.252:                              ;   in Loop: Header=BB0_3 Depth=1
	v_bfe_u32 v61, v66, 16, 1
	v_add3_u32 v61, v66, v61, s34
                                        ; implicit-def: $vgpr66
; %bb.253:                              ;   in Loop: Header=BB0_3 Depth=1
	s_andn2_saveexec_b64 s[30:31], s[0:1]
; %bb.254:                              ;   in Loop: Header=BB0_3 Depth=1
	v_or_b32_e32 v61, 0x10000, v66
	v_cmp_eq_u32_sdwa s[0:1], v66, v32 src0_sel:WORD_0 src1_sel:DWORD
	v_cndmask_b32_e64 v61, v61, v66, s[0:1]
; %bb.255:                              ;   in Loop: Header=BB0_3 Depth=1
	s_or_b64 exec, exec, s[30:31]
	v_and_b32_e32 v62, 0xffff0000, v62
	v_fma_f32 v66, v62, v65, v58
	v_and_b32_e32 v62, 0x7f800000, v66
	v_cmp_ne_u32_e64 s[0:1], s6, v62
                                        ; implicit-def: $vgpr62
	s_and_saveexec_b64 s[30:31], s[0:1]
	s_xor_b64 s[0:1], exec, s[30:31]
; %bb.256:                              ;   in Loop: Header=BB0_3 Depth=1
	v_bfe_u32 v62, v66, 16, 1
	v_add3_u32 v62, v66, v62, s34
                                        ; implicit-def: $vgpr66
; %bb.257:                              ;   in Loop: Header=BB0_3 Depth=1
	s_andn2_saveexec_b64 s[30:31], s[0:1]
; %bb.258:                              ;   in Loop: Header=BB0_3 Depth=1
	v_or_b32_e32 v62, 0x10000, v66
	v_cmp_eq_u32_sdwa s[0:1], v66, v32 src0_sel:WORD_0 src1_sel:DWORD
	v_cndmask_b32_e64 v62, v62, v66, s[0:1]
; %bb.259:                              ;   in Loop: Header=BB0_3 Depth=1
	s_or_b64 exec, exec, s[30:31]
	v_and_b32_e32 v63, 0xffff0000, v63
	v_fma_f32 v66, v63, v65, v58
	v_and_b32_e32 v63, 0x7f800000, v66
	v_cmp_ne_u32_e64 s[0:1], s6, v63
                                        ; implicit-def: $vgpr63
	s_and_saveexec_b64 s[30:31], s[0:1]
	s_xor_b64 s[0:1], exec, s[30:31]
; %bb.260:                              ;   in Loop: Header=BB0_3 Depth=1
	v_bfe_u32 v63, v66, 16, 1
	v_add3_u32 v63, v66, v63, s34
                                        ; implicit-def: $vgpr66
; %bb.261:                              ;   in Loop: Header=BB0_3 Depth=1
	s_andn2_saveexec_b64 s[30:31], s[0:1]
; %bb.262:                              ;   in Loop: Header=BB0_3 Depth=1
	v_or_b32_e32 v63, 0x10000, v66
	v_cmp_eq_u32_sdwa s[0:1], v66, v32 src0_sel:WORD_0 src1_sel:DWORD
	v_cndmask_b32_e64 v63, v63, v66, s[0:1]
; %bb.263:                              ;   in Loop: Header=BB0_3 Depth=1
	s_or_b64 exec, exec, s[30:31]
	v_and_b32_e32 v64, 0xffff0000, v64
	v_fmac_f32_e32 v58, v64, v65
	v_and_b32_e32 v64, 0x7f800000, v58
	v_cmp_ne_u32_e64 s[0:1], s6, v64
                                        ; implicit-def: $vgpr64
	s_and_saveexec_b64 s[30:31], s[0:1]
	s_xor_b64 s[0:1], exec, s[30:31]
; %bb.264:                              ;   in Loop: Header=BB0_3 Depth=1
	v_bfe_u32 v64, v58, 16, 1
	v_add3_u32 v64, v58, v64, s34
                                        ; implicit-def: $vgpr58
; %bb.265:                              ;   in Loop: Header=BB0_3 Depth=1
	s_andn2_saveexec_b64 s[30:31], s[0:1]
	s_cbranch_execz .LBB0_2
; %bb.266:                              ;   in Loop: Header=BB0_3 Depth=1
	v_or_b32_e32 v64, 0x10000, v58
	v_cmp_eq_u32_sdwa s[0:1], v58, v32 src0_sel:WORD_0 src1_sel:DWORD
	v_cndmask_b32_e64 v64, v64, v58, s[0:1]
	s_branch .LBB0_2
.LBB0_267:
	s_or_b64 exec, exec, s[10:11]
.LBB0_268:
	s_or_b64 exec, exec, s[4:5]
	v_lshl_add_u32 v8, v24, 1, s9
	v_cmp_gt_u32_e32 vcc, s3, v8
	s_and_saveexec_b64 s[0:1], vcc
	s_cbranch_execz .LBB0_336
; %bb.269:
	v_lshl_or_b32 v9, s8, 4, v25
	v_cmp_gt_i32_e32 vcc, s16, v9
	v_mov_b32_e32 v6, 0
	v_mov_b32_e32 v7, 0
	;; [unrolled: 1-line block ×4, first 2 shown]
	s_and_saveexec_b64 s[4:5], vcc
	s_cbranch_execz .LBB0_271
; %bb.270:
	v_mul_lo_u32 v4, v9, s18
	v_ashrrev_i32_e32 v5, 31, v4
	v_lshlrev_b64 v[4:5], 1, v[4:5]
	v_add_co_u32_e32 v7, vcc, s20, v4
	v_and_b32_e32 v4, 0xfc, v27
	v_mov_b32_e32 v6, s21
	v_lshl_add_u32 v4, v8, 4, v4
	v_addc_co_u32_e32 v6, vcc, v6, v5, vcc
	v_ashrrev_i32_e32 v5, 31, v4
	v_lshlrev_b64 v[4:5], 1, v[4:5]
	v_add_co_u32_e32 v10, vcc, v7, v4
	v_addc_co_u32_e32 v11, vcc, v6, v5, vcc
	global_load_dwordx2 v[6:7], v[10:11], off
	global_load_dwordx2 v[4:5], v[10:11], off offset:32
.LBB0_271:
	s_or_b64 exec, exec, s[4:5]
	s_lshr_b32 s4, s3, 31
	s_add_i32 s3, s3, s4
	s_lshr_b32 s3, s3, 1
	s_mul_i32 s3, s3, s7
	v_ashrrev_i32_e32 v10, 1, v8
	v_add_u32_e32 v8, s3, v10
	v_lshl_add_u32 v8, v8, 6, v26
	v_ashrrev_i32_e32 v9, 31, v8
	v_lshlrev_b64 v[8:9], 2, v[8:9]
	v_mov_b32_e32 v11, s23
	v_add_co_u32_e32 v8, vcc, s22, v8
	v_addc_co_u32_e32 v9, vcc, v11, v9, vcc
	global_load_dword v11, v[8:9], off
	v_mul_lo_u32 v9, s2, v10
	v_lshl_or_b32 v8, s7, 4, v25
	v_lshlrev_b32_e32 v9, 4, v9
	v_add_lshl_u32 v8, v8, v9, 1
	v_ashrrev_i32_e32 v9, 31, v8
	v_lshlrev_b64 v[8:9], 1, v[8:9]
	v_mov_b32_e32 v10, s13
	v_add_co_u32_e32 v8, vcc, s12, v8
	v_addc_co_u32_e32 v9, vcc, v10, v9, vcc
	global_load_dword v8, v[8:9], off
	v_mov_b32_e32 v9, 0xf000f
	v_mov_b32_e32 v13, 0x43004300
	s_waitcnt vmcnt(1)
	;;#ASMSTART
	v_and_or_b32 v10, v11, v9, v13
	;;#ASMEND
	s_mov_b32 s2, 0x7f800000
	v_lshrrev_b32_e32 v12, 4, v11
	v_lshrrev_b32_e32 v14, 8, v11
	;; [unrolled: 1-line block ×3, first 2 shown]
	;;#ASMSTART
	v_and_or_b32 v12, v12, v9, v13
	;;#ASMEND
	;;#ASMSTART
	v_and_or_b32 v14, v14, v9, v13
	;;#ASMEND
	;; [unrolled: 3-line block ×3, first 2 shown]
	v_lshlrev_b32_e32 v9, 16, v10
	v_add_f32_e32 v11, 0xc3080000, v9
	v_and_b32_e32 v9, 0x7f800000, v11
	v_cmp_ne_u32_e32 vcc, s2, v9
                                        ; implicit-def: $vgpr9
	s_and_saveexec_b64 s[2:3], vcc
	s_xor_b64 s[2:3], exec, s[2:3]
; %bb.272:
	v_bfe_u32 v9, v11, 16, 1
	s_movk_i32 s4, 0x7fff
	v_add3_u32 v9, v11, v9, s4
                                        ; implicit-def: $vgpr11
; %bb.273:
	s_andn2_saveexec_b64 s[2:3], s[2:3]
; %bb.274:
	v_mov_b32_e32 v9, 0
	v_or_b32_e32 v13, 0x10000, v11
	v_cmp_eq_u32_sdwa vcc, v11, v9 src0_sel:WORD_0 src1_sel:DWORD
	v_cndmask_b32_e32 v9, v13, v11, vcc
; %bb.275:
	s_or_b64 exec, exec, s[2:3]
	v_and_b32_e32 v10, 0xffff0000, v10
	v_add_f32_e32 v11, 0xc3080000, v10
	s_mov_b32 s2, 0x7f800000
	v_and_b32_e32 v10, 0x7f800000, v11
	v_cmp_ne_u32_e32 vcc, s2, v10
                                        ; implicit-def: $vgpr10
	s_and_saveexec_b64 s[2:3], vcc
	s_xor_b64 s[2:3], exec, s[2:3]
; %bb.276:
	v_bfe_u32 v10, v11, 16, 1
	s_movk_i32 s4, 0x7fff
	v_add3_u32 v10, v11, v10, s4
                                        ; implicit-def: $vgpr11
; %bb.277:
	s_andn2_saveexec_b64 s[2:3], s[2:3]
; %bb.278:
	v_mov_b32_e32 v10, 0
	v_or_b32_e32 v13, 0x10000, v11
	v_cmp_eq_u32_sdwa vcc, v11, v10 src0_sel:WORD_0 src1_sel:DWORD
	v_cndmask_b32_e32 v10, v13, v11, vcc
; %bb.279:
	s_or_b64 exec, exec, s[2:3]
	v_lshlrev_b32_e32 v11, 16, v12
	v_add_f32_e32 v13, 0xc3080000, v11
	s_mov_b32 s2, 0x7f800000
	v_and_b32_e32 v11, 0x7f800000, v13
	v_cmp_ne_u32_e32 vcc, s2, v11
                                        ; implicit-def: $vgpr11
	s_and_saveexec_b64 s[2:3], vcc
	s_xor_b64 s[2:3], exec, s[2:3]
; %bb.280:
	v_bfe_u32 v11, v13, 16, 1
	s_movk_i32 s4, 0x7fff
	v_add3_u32 v11, v13, v11, s4
                                        ; implicit-def: $vgpr13
; %bb.281:
	s_andn2_saveexec_b64 s[2:3], s[2:3]
; %bb.282:
	v_mov_b32_e32 v11, 0
	v_or_b32_e32 v15, 0x10000, v13
	v_cmp_eq_u32_sdwa vcc, v13, v11 src0_sel:WORD_0 src1_sel:DWORD
	v_cndmask_b32_e32 v11, v15, v13, vcc
; %bb.283:
	s_or_b64 exec, exec, s[2:3]
	v_and_b32_e32 v12, 0xffff0000, v12
	v_add_f32_e32 v13, 0xc3080000, v12
	s_mov_b32 s2, 0x7f800000
	v_and_b32_e32 v12, 0x7f800000, v13
	v_cmp_ne_u32_e32 vcc, s2, v12
                                        ; implicit-def: $vgpr12
	s_and_saveexec_b64 s[2:3], vcc
	s_xor_b64 s[2:3], exec, s[2:3]
; %bb.284:
	v_bfe_u32 v12, v13, 16, 1
	s_movk_i32 s4, 0x7fff
	v_add3_u32 v12, v13, v12, s4
                                        ; implicit-def: $vgpr13
; %bb.285:
	s_andn2_saveexec_b64 s[2:3], s[2:3]
; %bb.286:
	v_mov_b32_e32 v12, 0
	v_or_b32_e32 v15, 0x10000, v13
	v_cmp_eq_u32_sdwa vcc, v13, v12 src0_sel:WORD_0 src1_sel:DWORD
	v_cndmask_b32_e32 v12, v15, v13, vcc
; %bb.287:
	s_or_b64 exec, exec, s[2:3]
	v_lshlrev_b32_e32 v13, 16, v14
	v_add_f32_e32 v15, 0xc3080000, v13
	s_mov_b32 s2, 0x7f800000
	v_and_b32_e32 v13, 0x7f800000, v15
	v_cmp_ne_u32_e32 vcc, s2, v13
                                        ; implicit-def: $vgpr13
	s_and_saveexec_b64 s[2:3], vcc
	s_xor_b64 s[2:3], exec, s[2:3]
; %bb.288:
	v_bfe_u32 v13, v15, 16, 1
	s_movk_i32 s4, 0x7fff
	v_add3_u32 v13, v15, v13, s4
                                        ; implicit-def: $vgpr15
; %bb.289:
	s_andn2_saveexec_b64 s[2:3], s[2:3]
; %bb.290:
	v_mov_b32_e32 v13, 0
	v_or_b32_e32 v17, 0x10000, v15
	v_cmp_eq_u32_sdwa vcc, v15, v13 src0_sel:WORD_0 src1_sel:DWORD
	v_cndmask_b32_e32 v13, v17, v15, vcc
; %bb.291:
	s_or_b64 exec, exec, s[2:3]
	v_and_b32_e32 v14, 0xffff0000, v14
	v_add_f32_e32 v15, 0xc3080000, v14
	s_mov_b32 s2, 0x7f800000
	v_and_b32_e32 v14, 0x7f800000, v15
	v_cmp_ne_u32_e32 vcc, s2, v14
                                        ; implicit-def: $vgpr14
	s_and_saveexec_b64 s[2:3], vcc
	s_xor_b64 s[2:3], exec, s[2:3]
; %bb.292:
	v_bfe_u32 v14, v15, 16, 1
	s_movk_i32 s4, 0x7fff
	v_add3_u32 v14, v15, v14, s4
                                        ; implicit-def: $vgpr15
; %bb.293:
	s_andn2_saveexec_b64 s[2:3], s[2:3]
; %bb.294:
	v_mov_b32_e32 v14, 0
	v_or_b32_e32 v17, 0x10000, v15
	v_cmp_eq_u32_sdwa vcc, v15, v14 src0_sel:WORD_0 src1_sel:DWORD
	v_cndmask_b32_e32 v14, v17, v15, vcc
; %bb.295:
	s_or_b64 exec, exec, s[2:3]
	v_lshlrev_b32_e32 v15, 16, v16
	v_add_f32_e32 v17, 0xc3080000, v15
	s_mov_b32 s2, 0x7f800000
	v_and_b32_e32 v15, 0x7f800000, v17
	v_cmp_ne_u32_e32 vcc, s2, v15
                                        ; implicit-def: $vgpr15
	s_and_saveexec_b64 s[2:3], vcc
	s_xor_b64 s[2:3], exec, s[2:3]
; %bb.296:
	v_bfe_u32 v15, v17, 16, 1
	s_movk_i32 s4, 0x7fff
	v_add3_u32 v15, v17, v15, s4
                                        ; implicit-def: $vgpr17
; %bb.297:
	s_andn2_saveexec_b64 s[2:3], s[2:3]
; %bb.298:
	v_mov_b32_e32 v15, 0
	v_or_b32_e32 v18, 0x10000, v17
	v_cmp_eq_u32_sdwa vcc, v17, v15 src0_sel:WORD_0 src1_sel:DWORD
	v_cndmask_b32_e32 v15, v18, v17, vcc
; %bb.299:
	s_or_b64 exec, exec, s[2:3]
	v_and_b32_e32 v16, 0xffff0000, v16
	v_add_f32_e32 v17, 0xc3080000, v16
	s_mov_b32 s2, 0x7f800000
	v_and_b32_e32 v16, 0x7f800000, v17
	v_cmp_ne_u32_e32 vcc, s2, v16
                                        ; implicit-def: $vgpr16
	s_and_saveexec_b64 s[2:3], vcc
	s_xor_b64 s[2:3], exec, s[2:3]
; %bb.300:
	v_bfe_u32 v16, v17, 16, 1
	s_movk_i32 s4, 0x7fff
	v_add3_u32 v16, v17, v16, s4
                                        ; implicit-def: $vgpr17
; %bb.301:
	s_andn2_saveexec_b64 s[2:3], s[2:3]
; %bb.302:
	v_mov_b32_e32 v16, 0
	v_or_b32_e32 v18, 0x10000, v17
	v_cmp_eq_u32_sdwa vcc, v17, v16 src0_sel:WORD_0 src1_sel:DWORD
	v_cndmask_b32_e32 v16, v18, v17, vcc
; %bb.303:
	s_or_b64 exec, exec, s[2:3]
	v_and_b32_e32 v9, 0xffff0000, v9
	s_waitcnt vmcnt(0)
	v_lshlrev_b32_e32 v17, 16, v8
	v_and_b32_e32 v8, 0xffff0000, v8
	v_fma_f32 v18, v9, v17, v8
	s_mov_b32 s2, 0x7f800000
	v_and_b32_e32 v9, 0x7f800000, v18
	v_cmp_ne_u32_e32 vcc, s2, v9
                                        ; implicit-def: $vgpr9
	s_and_saveexec_b64 s[2:3], vcc
	s_xor_b64 s[2:3], exec, s[2:3]
; %bb.304:
	v_bfe_u32 v9, v18, 16, 1
	s_movk_i32 s4, 0x7fff
	v_add3_u32 v9, v18, v9, s4
                                        ; implicit-def: $vgpr18
; %bb.305:
	s_andn2_saveexec_b64 s[2:3], s[2:3]
; %bb.306:
	v_mov_b32_e32 v9, 0
	v_or_b32_e32 v19, 0x10000, v18
	v_cmp_eq_u32_sdwa vcc, v18, v9 src0_sel:WORD_0 src1_sel:DWORD
	v_cndmask_b32_e32 v9, v19, v18, vcc
; %bb.307:
	s_or_b64 exec, exec, s[2:3]
	v_and_b32_e32 v10, 0xffff0000, v10
	v_fma_f32 v18, v10, v17, v8
	s_mov_b32 s2, 0x7f800000
	v_and_b32_e32 v10, 0x7f800000, v18
	v_cmp_ne_u32_e32 vcc, s2, v10
                                        ; implicit-def: $vgpr10
	s_and_saveexec_b64 s[2:3], vcc
	s_xor_b64 s[2:3], exec, s[2:3]
; %bb.308:
	v_bfe_u32 v10, v18, 16, 1
	s_movk_i32 s4, 0x7fff
	v_add3_u32 v10, v18, v10, s4
                                        ; implicit-def: $vgpr18
; %bb.309:
	s_andn2_saveexec_b64 s[2:3], s[2:3]
; %bb.310:
	v_mov_b32_e32 v10, 0
	v_or_b32_e32 v19, 0x10000, v18
	v_cmp_eq_u32_sdwa vcc, v18, v10 src0_sel:WORD_0 src1_sel:DWORD
	v_cndmask_b32_e32 v10, v19, v18, vcc
; %bb.311:
	s_or_b64 exec, exec, s[2:3]
	v_and_b32_e32 v11, 0xffff0000, v11
	v_fma_f32 v18, v11, v17, v8
	s_mov_b32 s2, 0x7f800000
	v_and_b32_e32 v11, 0x7f800000, v18
	v_cmp_ne_u32_e32 vcc, s2, v11
                                        ; implicit-def: $vgpr11
	s_and_saveexec_b64 s[2:3], vcc
	s_xor_b64 s[2:3], exec, s[2:3]
; %bb.312:
	v_bfe_u32 v11, v18, 16, 1
	s_movk_i32 s4, 0x7fff
	v_add3_u32 v11, v18, v11, s4
                                        ; implicit-def: $vgpr18
; %bb.313:
	s_andn2_saveexec_b64 s[2:3], s[2:3]
; %bb.314:
	v_mov_b32_e32 v11, 0
	v_or_b32_e32 v19, 0x10000, v18
	v_cmp_eq_u32_sdwa vcc, v18, v11 src0_sel:WORD_0 src1_sel:DWORD
	v_cndmask_b32_e32 v11, v19, v18, vcc
; %bb.315:
	s_or_b64 exec, exec, s[2:3]
	v_and_b32_e32 v12, 0xffff0000, v12
	v_fma_f32 v18, v12, v17, v8
	s_mov_b32 s2, 0x7f800000
	v_and_b32_e32 v12, 0x7f800000, v18
	v_cmp_ne_u32_e32 vcc, s2, v12
                                        ; implicit-def: $vgpr12
	s_and_saveexec_b64 s[2:3], vcc
	s_xor_b64 s[2:3], exec, s[2:3]
; %bb.316:
	v_bfe_u32 v12, v18, 16, 1
	s_movk_i32 s4, 0x7fff
	v_add3_u32 v12, v18, v12, s4
                                        ; implicit-def: $vgpr18
; %bb.317:
	s_andn2_saveexec_b64 s[2:3], s[2:3]
; %bb.318:
	v_mov_b32_e32 v12, 0
	v_or_b32_e32 v19, 0x10000, v18
	v_cmp_eq_u32_sdwa vcc, v18, v12 src0_sel:WORD_0 src1_sel:DWORD
	v_cndmask_b32_e32 v12, v19, v18, vcc
; %bb.319:
	s_or_b64 exec, exec, s[2:3]
	v_and_b32_e32 v13, 0xffff0000, v13
	v_fma_f32 v18, v13, v17, v8
	s_mov_b32 s2, 0x7f800000
	v_and_b32_e32 v13, 0x7f800000, v18
	v_cmp_ne_u32_e32 vcc, s2, v13
                                        ; implicit-def: $vgpr13
	s_and_saveexec_b64 s[2:3], vcc
	s_xor_b64 s[2:3], exec, s[2:3]
; %bb.320:
	v_bfe_u32 v13, v18, 16, 1
	s_movk_i32 s4, 0x7fff
	v_add3_u32 v13, v18, v13, s4
                                        ; implicit-def: $vgpr18
; %bb.321:
	s_andn2_saveexec_b64 s[2:3], s[2:3]
; %bb.322:
	v_mov_b32_e32 v13, 0
	v_or_b32_e32 v19, 0x10000, v18
	v_cmp_eq_u32_sdwa vcc, v18, v13 src0_sel:WORD_0 src1_sel:DWORD
	v_cndmask_b32_e32 v13, v19, v18, vcc
; %bb.323:
	s_or_b64 exec, exec, s[2:3]
	v_and_b32_e32 v14, 0xffff0000, v14
	v_fma_f32 v18, v14, v17, v8
	s_mov_b32 s2, 0x7f800000
	v_and_b32_e32 v14, 0x7f800000, v18
	v_cmp_ne_u32_e32 vcc, s2, v14
                                        ; implicit-def: $vgpr14
	s_and_saveexec_b64 s[2:3], vcc
	s_xor_b64 s[2:3], exec, s[2:3]
; %bb.324:
	v_bfe_u32 v14, v18, 16, 1
	s_movk_i32 s4, 0x7fff
	v_add3_u32 v14, v18, v14, s4
                                        ; implicit-def: $vgpr18
; %bb.325:
	s_andn2_saveexec_b64 s[2:3], s[2:3]
; %bb.326:
	v_mov_b32_e32 v14, 0
	v_or_b32_e32 v19, 0x10000, v18
	v_cmp_eq_u32_sdwa vcc, v18, v14 src0_sel:WORD_0 src1_sel:DWORD
	v_cndmask_b32_e32 v14, v19, v18, vcc
; %bb.327:
	s_or_b64 exec, exec, s[2:3]
	v_and_b32_e32 v15, 0xffff0000, v15
	v_fma_f32 v18, v15, v17, v8
	s_mov_b32 s2, 0x7f800000
	v_and_b32_e32 v15, 0x7f800000, v18
	v_cmp_ne_u32_e32 vcc, s2, v15
                                        ; implicit-def: $vgpr15
	s_and_saveexec_b64 s[2:3], vcc
	s_xor_b64 s[2:3], exec, s[2:3]
; %bb.328:
	v_bfe_u32 v15, v18, 16, 1
	s_movk_i32 s4, 0x7fff
	v_add3_u32 v15, v18, v15, s4
                                        ; implicit-def: $vgpr18
; %bb.329:
	s_andn2_saveexec_b64 s[2:3], s[2:3]
; %bb.330:
	v_mov_b32_e32 v15, 0
	v_or_b32_e32 v19, 0x10000, v18
	v_cmp_eq_u32_sdwa vcc, v18, v15 src0_sel:WORD_0 src1_sel:DWORD
	v_cndmask_b32_e32 v15, v19, v18, vcc
; %bb.331:
	s_or_b64 exec, exec, s[2:3]
	v_and_b32_e32 v16, 0xffff0000, v16
	v_fmac_f32_e32 v8, v16, v17
	s_mov_b32 s2, 0x7f800000
	v_and_b32_e32 v16, 0x7f800000, v8
	v_cmp_ne_u32_e32 vcc, s2, v16
                                        ; implicit-def: $vgpr16
	s_and_saveexec_b64 s[2:3], vcc
	s_xor_b64 s[2:3], exec, s[2:3]
; %bb.332:
	v_bfe_u32 v16, v8, 16, 1
	s_movk_i32 s4, 0x7fff
	v_add3_u32 v16, v8, v16, s4
                                        ; implicit-def: $vgpr8
; %bb.333:
	s_andn2_saveexec_b64 s[2:3], s[2:3]
; %bb.334:
	v_mov_b32_e32 v16, 0
	v_or_b32_e32 v17, 0x10000, v8
	v_cmp_eq_u32_sdwa vcc, v8, v16 src0_sel:WORD_0 src1_sel:DWORD
	v_cndmask_b32_e32 v16, v17, v8, vcc
; %bb.335:
	s_or_b64 exec, exec, s[2:3]
	s_mov_b32 s2, 0x3020706
	v_perm_b32 v11, v11, v12, s2
	v_perm_b32 v10, v9, v10, s2
	s_nop 1
	v_mfma_f32_16x16x16bf16_1k v[6:9], v[6:7], v[10:11], 0
	v_perm_b32 v11, v15, v16, s2
	v_perm_b32 v10, v13, v14, s2
	s_nop 7
	s_nop 0
	v_pk_add_f32 v[8:9], v[2:3], v[8:9]
	v_pk_add_f32 v[6:7], v[0:1], v[6:7]
	v_mfma_f32_16x16x16bf16_1k v[0:3], v[4:5], v[10:11], 0
	s_nop 7
	s_nop 2
	v_pk_add_f32 v[2:3], v[8:9], v[2:3]
	v_pk_add_f32 v[0:1], v[6:7], v[0:1]
.LBB0_336:
	s_or_b64 exec, exec, s[0:1]
	v_lshlrev_b32_e32 v28, 4, v26
	v_lshl_add_u32 v4, v24, 10, v28
	v_cmp_eq_u32_e32 vcc, 0, v24
	ds_write_b128 v4, v[0:3]
	s_waitcnt lgkmcnt(0)
	s_barrier
	s_and_saveexec_b64 s[0:1], vcc
	s_cbranch_execz .LBB0_361
; %bb.337:
	v_add_u32_e32 v0, 12, v28
	v_add_u32_e32 v1, 0x404, v28
	;; [unrolled: 1-line block ×4, first 2 shown]
	ds_read2st64_b32 v[2:3], v0 offset1:4
	ds_read2st64_b32 v[4:5], v0 offset0:8 offset1:12
	ds_read2_b32 v[10:11], v28 offset0:1 offset1:2
	ds_read2_b32 v[12:13], v1 offset1:1
	ds_read2_b32 v[14:15], v6 offset1:1
	;; [unrolled: 1-line block ×3, first 2 shown]
	v_add_u32_e32 v1, 0x1004, v28
	ds_read2st64_b32 v[6:7], v0 offset0:16 offset1:20
	v_add_u32_e32 v20, 0x1404, v28
	v_add_u32_e32 v22, 0x1804, v28
	ds_read2st64_b32 v[8:9], v0 offset0:24 offset1:28
	v_add_u32_e32 v0, 0x1c04, v28
	ds_read2_b32 v[18:19], v1 offset1:1
	ds_read2_b32 v[20:21], v20 offset1:1
	;; [unrolled: 1-line block ×4, first 2 shown]
	v_and_b32_e32 v0, 0xfc, v27
	v_lshl_add_u32 v27, s8, 4, v0
	v_mul_lo_u32 v30, v27, s17
	v_ashrrev_i32_e32 v31, 31, v30
	s_lshl_b32 s0, s7, 4
	v_lshlrev_b64 v[30:31], 1, v[30:31]
	v_and_or_b32 v0, v26, 15, s0
	v_mov_b32_e32 v1, s15
	v_add_co_u32_e32 v26, vcc, s14, v30
	v_addc_co_u32_e32 v29, vcc, v1, v31, vcc
	v_ashrrev_i32_e32 v1, 31, v0
	v_lshlrev_b64 v[0:1], 1, v[0:1]
	v_add_co_u32_e32 v0, vcc, v26, v0
	v_addc_co_u32_e32 v1, vcc, v29, v1, vcc
	v_cmp_gt_i32_e32 vcc, s16, v27
	s_and_saveexec_b64 s[0:1], vcc
	s_cbranch_execz .LBB0_343
; %bb.338:
	ds_read2st64_b32 v[30:31], v28 offset1:4
	ds_read2st64_b32 v[32:33], v28 offset0:8 offset1:12
	ds_read2st64_b32 v[34:35], v28 offset0:16 offset1:20
	;; [unrolled: 1-line block ×3, first 2 shown]
	s_mov_b32 s2, 0x7f800000
	s_waitcnt lgkmcnt(3)
	v_add_f32_e32 v26, 0, v30
	v_add_f32_e32 v26, v26, v31
	s_waitcnt lgkmcnt(2)
	v_add_f32_e32 v26, v26, v32
	v_add_f32_e32 v26, v26, v33
	;; [unrolled: 3-line block ×4, first 2 shown]
	v_and_b32_e32 v28, 0x7f800000, v26
	v_cmp_ne_u32_e32 vcc, s2, v28
                                        ; implicit-def: $vgpr28
	s_and_saveexec_b64 s[2:3], vcc
	s_xor_b64 s[2:3], exec, s[2:3]
; %bb.339:
	v_bfe_u32 v28, v26, 16, 1
	s_movk_i32 s4, 0x7fff
	v_add3_u32 v28, v26, v28, s4
                                        ; implicit-def: $vgpr26
; %bb.340:
	s_andn2_saveexec_b64 s[2:3], s[2:3]
; %bb.341:
	v_mov_b32_e32 v28, 0
	v_or_b32_e32 v29, 0x10000, v26
	v_cmp_eq_u32_sdwa vcc, v26, v28 src0_sel:WORD_0 src1_sel:DWORD
	v_cndmask_b32_e32 v28, v29, v26, vcc
; %bb.342:
	s_or_b64 exec, exec, s[2:3]
	global_store_short_d16_hi v[0:1], v28, off
.LBB0_343:
	s_or_b64 exec, exec, s[0:1]
	v_or_b32_e32 v26, 1, v27
	v_cmp_gt_i32_e32 vcc, s16, v26
	s_and_saveexec_b64 s[0:1], vcc
	s_cbranch_execz .LBB0_349
; %bb.344:
	s_waitcnt lgkmcnt(9)
	v_add_f32_e32 v10, 0, v10
	s_waitcnt lgkmcnt(8)
	v_add_f32_e32 v10, v10, v12
	s_waitcnt lgkmcnt(7)
	v_add_f32_e32 v10, v10, v14
	s_waitcnt lgkmcnt(6)
	v_add_f32_e32 v10, v10, v16
	s_waitcnt lgkmcnt(3)
	v_add_f32_e32 v10, v10, v18
	s_waitcnt lgkmcnt(2)
	v_add_f32_e32 v10, v10, v20
	s_waitcnt lgkmcnt(1)
	v_add_f32_e32 v10, v10, v22
	s_waitcnt lgkmcnt(0)
	v_add_f32_e32 v12, v10, v24
	s_mov_b32 s2, 0x7f800000
	v_and_b32_e32 v10, 0x7f800000, v12
	v_cmp_ne_u32_e32 vcc, s2, v10
                                        ; implicit-def: $vgpr10
	s_and_saveexec_b64 s[2:3], vcc
	s_xor_b64 s[2:3], exec, s[2:3]
; %bb.345:
	v_bfe_u32 v10, v12, 16, 1
	s_movk_i32 s4, 0x7fff
	v_add3_u32 v10, v12, v10, s4
                                        ; implicit-def: $vgpr12
; %bb.346:
	s_andn2_saveexec_b64 s[2:3], s[2:3]
; %bb.347:
	v_mov_b32_e32 v10, 0
	v_or_b32_e32 v14, 0x10000, v12
	v_cmp_eq_u32_sdwa vcc, v12, v10 src0_sel:WORD_0 src1_sel:DWORD
	v_cndmask_b32_e32 v10, v14, v12, vcc
; %bb.348:
	s_or_b64 exec, exec, s[2:3]
	s_ashr_i32 s3, s17, 31
	s_mov_b32 s2, s17
	s_lshl_b64 s[2:3], s[2:3], 1
	v_mov_b32_e32 v12, s3
	v_add_co_u32_e32 v28, vcc, s2, v0
	v_addc_co_u32_e32 v29, vcc, v1, v12, vcc
	global_store_short_d16_hi v[28:29], v10, off
.LBB0_349:
	s_or_b64 exec, exec, s[0:1]
	s_waitcnt lgkmcnt(9)
	v_or_b32_e32 v10, 2, v27
	v_cmp_gt_i32_e32 vcc, s16, v10
	s_and_saveexec_b64 s[0:1], vcc
	s_cbranch_execz .LBB0_355
; %bb.350:
	v_add_f32_e32 v10, 0, v11
	s_waitcnt lgkmcnt(8)
	v_add_f32_e32 v10, v10, v13
	s_waitcnt lgkmcnt(7)
	;; [unrolled: 2-line block ×7, first 2 shown]
	v_add_f32_e32 v11, v10, v25
	s_mov_b32 s2, 0x7f800000
	v_and_b32_e32 v10, 0x7f800000, v11
	v_cmp_ne_u32_e32 vcc, s2, v10
                                        ; implicit-def: $vgpr10
	s_and_saveexec_b64 s[2:3], vcc
	s_xor_b64 s[2:3], exec, s[2:3]
; %bb.351:
	v_bfe_u32 v10, v11, 16, 1
	s_movk_i32 s4, 0x7fff
	v_add3_u32 v10, v11, v10, s4
                                        ; implicit-def: $vgpr11
; %bb.352:
	s_andn2_saveexec_b64 s[2:3], s[2:3]
; %bb.353:
	v_mov_b32_e32 v10, 0
	v_or_b32_e32 v12, 0x10000, v11
	v_cmp_eq_u32_sdwa vcc, v11, v10 src0_sel:WORD_0 src1_sel:DWORD
	v_cndmask_b32_e32 v10, v12, v11, vcc
; %bb.354:
	s_or_b64 exec, exec, s[2:3]
	s_lshl_b32 s2, s17, 1
	s_ashr_i32 s3, s2, 31
	s_lshl_b64 s[2:3], s[2:3], 1
	v_mov_b32_e32 v11, s3
	v_add_co_u32_e32 v12, vcc, s2, v0
	v_addc_co_u32_e32 v13, vcc, v1, v11, vcc
	global_store_short_d16_hi v[12:13], v10, off
.LBB0_355:
	s_or_b64 exec, exec, s[0:1]
	v_or_b32_e32 v10, 3, v27
	v_cmp_gt_i32_e32 vcc, s16, v10
	s_and_b64 exec, exec, vcc
	s_cbranch_execz .LBB0_361
; %bb.356:
	v_add_f32_e32 v2, 0, v2
	v_add_f32_e32 v2, v2, v3
	;; [unrolled: 1-line block ×4, first 2 shown]
	s_waitcnt lgkmcnt(5)
	v_add_f32_e32 v2, v2, v6
	v_add_f32_e32 v2, v2, v7
	s_waitcnt lgkmcnt(4)
	v_add_f32_e32 v2, v2, v8
	v_add_f32_e32 v3, v2, v9
	s_mov_b32 s0, 0x7f800000
	v_and_b32_e32 v2, 0x7f800000, v3
	v_cmp_ne_u32_e32 vcc, s0, v2
                                        ; implicit-def: $vgpr2
	s_and_saveexec_b64 s[0:1], vcc
	s_xor_b64 s[0:1], exec, s[0:1]
; %bb.357:
	v_bfe_u32 v2, v3, 16, 1
	s_movk_i32 s2, 0x7fff
	v_add3_u32 v2, v3, v2, s2
                                        ; implicit-def: $vgpr3
; %bb.358:
	s_andn2_saveexec_b64 s[0:1], s[0:1]
; %bb.359:
	v_mov_b32_e32 v2, 0
	v_or_b32_e32 v4, 0x10000, v3
	v_cmp_eq_u32_sdwa vcc, v3, v2 src0_sel:WORD_0 src1_sel:DWORD
	v_cndmask_b32_e32 v2, v4, v3, vcc
; %bb.360:
	s_or_b64 exec, exec, s[0:1]
	s_mul_i32 s0, s17, 3
	s_ashr_i32 s1, s0, 31
	s_lshl_b64 s[0:1], s[0:1], 1
	v_mov_b32_e32 v3, s1
	v_add_co_u32_e32 v0, vcc, s0, v0
	v_addc_co_u32_e32 v1, vcc, v1, v3, vcc
	global_store_short_d16_hi v[0:1], v2, off
.LBB0_361:
	s_endpgm
	.section	.rodata,"a",@progbits
	.p2align	6, 0x0
	.amdhsa_kernel _ZN2at6native30tinygemm_m16n8k16_chunk_kernelINS0_10ALayout_RMILNS0_14KReductionTypeE0EEENS0_15BLayout_TC_int4ILi2ELi32EEES4_Li8ELi8EEEvPKvS8_S8_Pviiiiii
		.amdhsa_group_segment_fixed_size 8192
		.amdhsa_private_segment_fixed_size 0
		.amdhsa_kernarg_size 56
		.amdhsa_user_sgpr_count 6
		.amdhsa_user_sgpr_private_segment_buffer 1
		.amdhsa_user_sgpr_dispatch_ptr 0
		.amdhsa_user_sgpr_queue_ptr 0
		.amdhsa_user_sgpr_kernarg_segment_ptr 1
		.amdhsa_user_sgpr_dispatch_id 0
		.amdhsa_user_sgpr_flat_scratch_init 0
		.amdhsa_user_sgpr_kernarg_preload_length 0
		.amdhsa_user_sgpr_kernarg_preload_offset 0
		.amdhsa_user_sgpr_private_segment_size 0
		.amdhsa_uses_dynamic_stack 0
		.amdhsa_system_sgpr_private_segment_wavefront_offset 0
		.amdhsa_system_sgpr_workgroup_id_x 1
		.amdhsa_system_sgpr_workgroup_id_y 1
		.amdhsa_system_sgpr_workgroup_id_z 1
		.amdhsa_system_sgpr_workgroup_info 0
		.amdhsa_system_vgpr_workitem_id 1
		.amdhsa_next_free_vgpr 70
		.amdhsa_next_free_sgpr 36
		.amdhsa_accum_offset 72
		.amdhsa_reserve_vcc 1
		.amdhsa_reserve_flat_scratch 0
		.amdhsa_float_round_mode_32 0
		.amdhsa_float_round_mode_16_64 0
		.amdhsa_float_denorm_mode_32 3
		.amdhsa_float_denorm_mode_16_64 3
		.amdhsa_dx10_clamp 1
		.amdhsa_ieee_mode 1
		.amdhsa_fp16_overflow 0
		.amdhsa_tg_split 0
		.amdhsa_exception_fp_ieee_invalid_op 0
		.amdhsa_exception_fp_denorm_src 0
		.amdhsa_exception_fp_ieee_div_zero 0
		.amdhsa_exception_fp_ieee_overflow 0
		.amdhsa_exception_fp_ieee_underflow 0
		.amdhsa_exception_fp_ieee_inexact 0
		.amdhsa_exception_int_div_zero 0
	.end_amdhsa_kernel
	.section	.text._ZN2at6native30tinygemm_m16n8k16_chunk_kernelINS0_10ALayout_RMILNS0_14KReductionTypeE0EEENS0_15BLayout_TC_int4ILi2ELi32EEES4_Li8ELi8EEEvPKvS8_S8_Pviiiiii,"axG",@progbits,_ZN2at6native30tinygemm_m16n8k16_chunk_kernelINS0_10ALayout_RMILNS0_14KReductionTypeE0EEENS0_15BLayout_TC_int4ILi2ELi32EEES4_Li8ELi8EEEvPKvS8_S8_Pviiiiii,comdat
.Lfunc_end0:
	.size	_ZN2at6native30tinygemm_m16n8k16_chunk_kernelINS0_10ALayout_RMILNS0_14KReductionTypeE0EEENS0_15BLayout_TC_int4ILi2ELi32EEES4_Li8ELi8EEEvPKvS8_S8_Pviiiiii, .Lfunc_end0-_ZN2at6native30tinygemm_m16n8k16_chunk_kernelINS0_10ALayout_RMILNS0_14KReductionTypeE0EEENS0_15BLayout_TC_int4ILi2ELi32EEES4_Li8ELi8EEEvPKvS8_S8_Pviiiiii
                                        ; -- End function
	.section	.AMDGPU.csdata,"",@progbits
; Kernel info:
; codeLenInByte = 9944
; NumSgprs: 40
; NumVgprs: 70
; NumAgprs: 0
; TotalNumVgprs: 70
; ScratchSize: 0
; MemoryBound: 0
; FloatMode: 240
; IeeeMode: 1
; LDSByteSize: 8192 bytes/workgroup (compile time only)
; SGPRBlocks: 4
; VGPRBlocks: 8
; NumSGPRsForWavesPerEU: 40
; NumVGPRsForWavesPerEU: 70
; AccumOffset: 72
; Occupancy: 7
; WaveLimiterHint : 1
; COMPUTE_PGM_RSRC2:SCRATCH_EN: 0
; COMPUTE_PGM_RSRC2:USER_SGPR: 6
; COMPUTE_PGM_RSRC2:TRAP_HANDLER: 0
; COMPUTE_PGM_RSRC2:TGID_X_EN: 1
; COMPUTE_PGM_RSRC2:TGID_Y_EN: 1
; COMPUTE_PGM_RSRC2:TGID_Z_EN: 1
; COMPUTE_PGM_RSRC2:TIDIG_COMP_CNT: 1
; COMPUTE_PGM_RSRC3_GFX90A:ACCUM_OFFSET: 17
; COMPUTE_PGM_RSRC3_GFX90A:TG_SPLIT: 0
	.section	.text._ZN2at6native30tinygemm_m16n8k16_chunk_kernelINS0_10ALayout_RMILNS0_14KReductionTypeE0EEENS0_15BLayout_TC_int4ILi4ELi32EEES4_Li8ELi8EEEvPKvS8_S8_Pviiiiii,"axG",@progbits,_ZN2at6native30tinygemm_m16n8k16_chunk_kernelINS0_10ALayout_RMILNS0_14KReductionTypeE0EEENS0_15BLayout_TC_int4ILi4ELi32EEES4_Li8ELi8EEEvPKvS8_S8_Pviiiiii,comdat
	.protected	_ZN2at6native30tinygemm_m16n8k16_chunk_kernelINS0_10ALayout_RMILNS0_14KReductionTypeE0EEENS0_15BLayout_TC_int4ILi4ELi32EEES4_Li8ELi8EEEvPKvS8_S8_Pviiiiii ; -- Begin function _ZN2at6native30tinygemm_m16n8k16_chunk_kernelINS0_10ALayout_RMILNS0_14KReductionTypeE0EEENS0_15BLayout_TC_int4ILi4ELi32EEES4_Li8ELi8EEEvPKvS8_S8_Pviiiiii
	.globl	_ZN2at6native30tinygemm_m16n8k16_chunk_kernelINS0_10ALayout_RMILNS0_14KReductionTypeE0EEENS0_15BLayout_TC_int4ILi4ELi32EEES4_Li8ELi8EEEvPKvS8_S8_Pviiiiii
	.p2align	8
	.type	_ZN2at6native30tinygemm_m16n8k16_chunk_kernelINS0_10ALayout_RMILNS0_14KReductionTypeE0EEENS0_15BLayout_TC_int4ILi4ELi32EEES4_Li8ELi8EEEvPKvS8_S8_Pviiiiii,@function
_ZN2at6native30tinygemm_m16n8k16_chunk_kernelINS0_10ALayout_RMILNS0_14KReductionTypeE0EEENS0_15BLayout_TC_int4ILi4ELi32EEES4_Li8ELi8EEEvPKvS8_S8_Pviiiiii: ; @_ZN2at6native30tinygemm_m16n8k16_chunk_kernelINS0_10ALayout_RMILNS0_14KReductionTypeE0EEENS0_15BLayout_TC_int4ILi4ELi32EEES4_Li8ELi8EEEvPKvS8_S8_Pviiiiii
; %bb.0:
	s_load_dwordx2 s[2:3], s[4:5], 0x30
	s_load_dwordx4 s[20:23], s[4:5], 0x0
	s_load_dwordx8 s[12:19], s[4:5], 0x10
	v_bfe_u32 v28, v0, 10, 10
	s_mov_b32 s24, 0
	s_waitcnt lgkmcnt(0)
	s_ashr_i32 s9, s3, 31
	s_lshr_b32 s0, s9, 29
	v_and_b32_e32 v26, 0x3ff, v0
	s_add_i32 s0, s3, s0
	v_lshlrev_b32_e32 v0, 3, v28
	s_mov_b32 s25, s24
	s_and_b32 s19, s0, -8
	v_lshl_add_u32 v31, s6, 6, v0
	s_mov_b32 s26, s24
	s_mov_b32 s27, s24
	v_pk_mov_b32 v[0:1], s[24:25], s[24:25] op_sel:[0,1]
	v_cmp_gt_i32_e32 vcc, s19, v31
	v_pk_mov_b32 v[2:3], s[26:27], s[26:27] op_sel:[0,1]
	v_and_b32_e32 v29, 15, v26
	v_lshrrev_b32_e32 v27, 2, v26
	v_lshlrev_b32_e32 v30, 1, v26
	s_and_saveexec_b64 s[4:5], vcc
	s_cbranch_execz .LBB1_268
; %bb.1:
	v_lshl_or_b32 v2, s8, 4, v29
	v_mul_lo_u32 v0, v2, s18
	v_ashrrev_i32_e32 v1, 31, v0
	s_lshr_b32 s0, s9, 30
	v_lshlrev_b64 v[0:1], 1, v[0:1]
	s_add_i32 s0, s3, s0
	v_mov_b32_e32 v4, s21
	v_add_co_u32_e32 v32, vcc, s20, v0
	s_ashr_i32 s33, s0, 2
	s_lshl_b32 s0, s2, 5
	s_lshl_b32 s26, s2, 6
	s_mul_i32 s28, s2, 0x60
	v_and_b32_e32 v3, 0xfc, v27
	v_addc_co_u32_e32 v33, vcc, v4, v1, vcc
	s_ashr_i32 s1, s0, 31
	s_ashr_i32 s27, s26, 31
	;; [unrolled: 1-line block ×3, first 2 shown]
	s_lshl_b32 s6, s6, 10
	v_lshlrev_b32_e32 v0, 7, v28
	v_mov_b32_e32 v35, 0
	v_cmp_gt_i32_e32 vcc, s16, v2
	s_mul_i32 s33, s33, s7
	v_lshl_or_b32 v34, s7, 4, v29
	s_lshl_b32 s34, s2, 4
	v_add3_u32 v4, s6, v0, v3
	s_mov_b64 s[10:11], 0
	s_lshl_b64 s[24:25], s[0:1], 1
	s_lshl_b64 s[26:27], s[26:27], 1
	;; [unrolled: 1-line block ×3, first 2 shown]
	v_mov_b32_e32 v36, 0xf000f
	v_mov_b32_e32 v37, 0x43004300
	s_mov_b32 s6, 0x7f800000
	s_movk_i32 s35, 0x7fff
	s_mov_b32 s36, 0x3020706
	v_mov_b32_e32 v0, 0
	v_mov_b32_e32 v1, v35
	v_mov_b32_e32 v2, 0
	v_mov_b32_e32 v3, v35
	s_branch .LBB1_3
.LBB1_2:                                ;   in Loop: Header=BB1_3 Depth=1
	s_or_b64 exec, exec, s[30:31]
	v_perm_b32 v39, v39, v40, s36
	v_perm_b32 v38, v24, v38, s36
	;; [unrolled: 1-line block ×3, first 2 shown]
	v_add_u32_e32 v31, 64, v31
	v_mfma_f32_16x16x16bf16_1k v[66:69], v[8:9], v[38:39], 0
	v_perm_b32 v9, v43, v44, s36
	v_perm_b32 v8, v41, v42, s36
	;; [unrolled: 1-line block ×7, first 2 shown]
	v_mfma_f32_16x16x16bf16_1k v[6:9], v[6:7], v[8:9], 0
	s_nop 2
	v_pk_add_f32 v[2:3], v[2:3], v[68:69]
	v_pk_add_f32 v[0:1], v[0:1], v[66:67]
	v_cmp_le_i32_e64 s[0:1], s19, v31
	s_or_b64 s[10:11], s[0:1], s[10:11]
	v_add_u32_e32 v4, 0x400, v4
	s_nop 2
	v_pk_add_f32 v[2:3], v[2:3], v[8:9]
	v_mfma_f32_16x16x16bf16_1k v[38:41], v[16:17], v[38:39], 0
	v_perm_b32 v17, v51, v52, s36
	v_perm_b32 v16, v49, v50, s36
	v_pk_add_f32 v[0:1], v[0:1], v[6:7]
	s_nop 0
	v_mfma_f32_16x16x16bf16_1k v[14:17], v[14:15], v[16:17], 0
	s_nop 5
	v_pk_add_f32 v[2:3], v[2:3], v[40:41]
	v_pk_add_f32 v[6:7], v[0:1], v[38:39]
	v_mfma_f32_16x16x16bf16_1k v[42:45], v[10:11], v[24:25], 0
	v_perm_b32 v11, v57, v58, s36
	v_perm_b32 v10, v55, v56, s36
	;; [unrolled: 1-line block ×4, first 2 shown]
	v_pk_add_f32 v[8:9], v[2:3], v[16:17]
	v_pk_add_f32 v[6:7], v[6:7], v[14:15]
	s_nop 4
	v_pk_add_f32 v[8:9], v[8:9], v[44:45]
	v_mfma_f32_16x16x16bf16_1k v[20:23], v[20:21], v[10:11], 0
	v_pk_add_f32 v[6:7], v[6:7], v[42:43]
	v_mfma_f32_16x16x16bf16_1k v[0:3], v[18:19], v[24:25], 0
	s_nop 7
	s_nop 0
	v_pk_add_f32 v[8:9], v[8:9], v[22:23]
	v_pk_add_f32 v[6:7], v[6:7], v[20:21]
	;; [unrolled: 1-line block ×4, first 2 shown]
	v_mfma_f32_16x16x16bf16_1k v[0:3], v[12:13], v[46:47], 0
	s_nop 7
	s_nop 2
	v_pk_add_f32 v[2:3], v[8:9], v[2:3]
	v_pk_add_f32 v[0:1], v[6:7], v[0:1]
	s_andn2_b64 exec, exec, s[10:11]
	s_cbranch_execz .LBB1_267
.LBB1_3:                                ; =>This Inner Loop Header: Depth=1
	v_ashrrev_i32_e32 v5, 31, v4
	v_lshlrev_b64 v[6:7], 1, v[4:5]
	v_add_co_u32_e64 v22, s[0:1], v32, v6
	v_addc_co_u32_e64 v23, s[0:1], v33, v7, s[0:1]
	v_mov_b32_e32 v8, 0
	v_mov_b32_e32 v9, 0
	;; [unrolled: 1-line block ×4, first 2 shown]
	s_and_saveexec_b64 s[0:1], vcc
	s_cbranch_execz .LBB1_5
; %bb.4:                                ;   in Loop: Header=BB1_3 Depth=1
	global_load_dwordx2 v[8:9], v[22:23], off
	global_load_dwordx2 v[6:7], v[22:23], off offset:32
.LBB1_5:                                ;   in Loop: Header=BB1_3 Depth=1
	s_or_b64 exec, exec, s[0:1]
	v_mov_b32_e32 v10, 0
	v_mov_b32_e32 v16, 0
	;; [unrolled: 1-line block ×5, first 2 shown]
	s_and_saveexec_b64 s[0:1], vcc
	s_cbranch_execz .LBB1_7
; %bb.6:                                ;   in Loop: Header=BB1_3 Depth=1
	global_load_dwordx2 v[16:17], v[22:23], off offset:64
	global_load_dwordx2 v[14:15], v[22:23], off offset:96
.LBB1_7:                                ;   in Loop: Header=BB1_3 Depth=1
	s_or_b64 exec, exec, s[0:1]
	v_mov_b32_e32 v11, 0
	v_mov_b32_e32 v20, 0
	;; [unrolled: 1-line block ×3, first 2 shown]
	s_and_saveexec_b64 s[0:1], vcc
	s_cbranch_execz .LBB1_9
; %bb.8:                                ;   in Loop: Header=BB1_3 Depth=1
	global_load_dwordx2 v[10:11], v[22:23], off offset:128
	global_load_dwordx2 v[20:21], v[22:23], off offset:160
.LBB1_9:                                ;   in Loop: Header=BB1_3 Depth=1
	s_or_b64 exec, exec, s[0:1]
	v_mov_b32_e32 v18, 0
	v_mov_b32_e32 v19, 0
	;; [unrolled: 1-line block ×4, first 2 shown]
	s_and_saveexec_b64 s[0:1], vcc
	s_cbranch_execz .LBB1_11
; %bb.10:                               ;   in Loop: Header=BB1_3 Depth=1
	global_load_dwordx2 v[18:19], v[22:23], off offset:192
	global_load_dwordx2 v[12:13], v[22:23], off offset:224
.LBB1_11:                               ;   in Loop: Header=BB1_3 Depth=1
	s_or_b64 exec, exec, s[0:1]
	v_lshrrev_b32_e32 v5, 2, v31
	v_add_u32_e32 v5, s33, v5
	v_lshl_add_u32 v22, v5, 7, v30
	v_ashrrev_i32_e32 v23, 31, v22
	v_lshlrev_b64 v[22:23], 2, v[22:23]
	v_mov_b32_e32 v5, s23
	v_add_co_u32_e64 v38, s[0:1], s22, v22
	v_addc_co_u32_e64 v39, s[0:1], v5, v23, s[0:1]
	v_lshrrev_b32_e32 v5, 1, v31
	v_mul_lo_u32 v5, s34, v5
	global_load_dwordx2 v[24:25], v[38:39], off
	global_load_dwordx2 v[22:23], v[38:39], off offset:512
	v_add_lshl_u32 v38, v34, v5, 1
	v_ashrrev_i32_e32 v39, 31, v38
	v_lshlrev_b64 v[38:39], 1, v[38:39]
	v_mov_b32_e32 v5, s13
	v_add_co_u32_e64 v40, s[0:1], s12, v38
	v_addc_co_u32_e64 v41, s[0:1], v5, v39, s[0:1]
	v_mov_b32_e32 v5, s25
	v_add_co_u32_e64 v42, s[0:1], s24, v40
	v_addc_co_u32_e64 v43, s[0:1], v41, v5, s[0:1]
	;; [unrolled: 3-line block ×4, first 2 shown]
	global_load_dword v38, v[40:41], off
	global_load_dword v46, v[42:43], off
	global_load_dword v45, v[48:49], off
	global_load_dword v5, v[50:51], off
	s_waitcnt vmcnt(5)
	;;#ASMSTART
	v_and_or_b32 v39, v24, v36, v37
	;;#ASMEND
	v_lshrrev_b32_e32 v40, 4, v24
	v_lshrrev_b32_e32 v42, 8, v24
	v_lshrrev_b32_e32 v24, 12, v24
	;;#ASMSTART
	v_and_or_b32 v41, v40, v36, v37
	;;#ASMEND
	;;#ASMSTART
	v_and_or_b32 v43, v42, v36, v37
	;;#ASMEND
	;; [unrolled: 3-line block ×3, first 2 shown]
	v_lshlrev_b32_e32 v24, 16, v39
	v_add_f32_e32 v40, 0xc3080000, v24
	v_and_b32_e32 v24, 0x7f800000, v40
	v_cmp_ne_u32_e64 s[0:1], s6, v24
                                        ; implicit-def: $vgpr24
	s_and_saveexec_b64 s[30:31], s[0:1]
	s_xor_b64 s[0:1], exec, s[30:31]
; %bb.12:                               ;   in Loop: Header=BB1_3 Depth=1
	v_bfe_u32 v24, v40, 16, 1
	v_add3_u32 v24, v40, v24, s35
                                        ; implicit-def: $vgpr40
; %bb.13:                               ;   in Loop: Header=BB1_3 Depth=1
	s_andn2_saveexec_b64 s[30:31], s[0:1]
; %bb.14:                               ;   in Loop: Header=BB1_3 Depth=1
	v_or_b32_e32 v24, 0x10000, v40
	v_cmp_eq_u32_sdwa s[0:1], v40, v35 src0_sel:WORD_0 src1_sel:DWORD
	v_cndmask_b32_e64 v24, v24, v40, s[0:1]
; %bb.15:                               ;   in Loop: Header=BB1_3 Depth=1
	s_or_b64 exec, exec, s[30:31]
	v_and_b32_e32 v39, 0xffff0000, v39
	v_add_f32_e32 v40, 0xc3080000, v39
	v_and_b32_e32 v39, 0x7f800000, v40
	v_cmp_ne_u32_e64 s[0:1], s6, v39
                                        ; implicit-def: $vgpr39
	s_and_saveexec_b64 s[30:31], s[0:1]
	s_xor_b64 s[0:1], exec, s[30:31]
; %bb.16:                               ;   in Loop: Header=BB1_3 Depth=1
	v_bfe_u32 v39, v40, 16, 1
	v_add3_u32 v39, v40, v39, s35
                                        ; implicit-def: $vgpr40
; %bb.17:                               ;   in Loop: Header=BB1_3 Depth=1
	s_andn2_saveexec_b64 s[30:31], s[0:1]
; %bb.18:                               ;   in Loop: Header=BB1_3 Depth=1
	v_or_b32_e32 v39, 0x10000, v40
	v_cmp_eq_u32_sdwa s[0:1], v40, v35 src0_sel:WORD_0 src1_sel:DWORD
	v_cndmask_b32_e64 v39, v39, v40, s[0:1]
; %bb.19:                               ;   in Loop: Header=BB1_3 Depth=1
	s_or_b64 exec, exec, s[30:31]
	v_lshlrev_b32_e32 v40, 16, v41
	v_add_f32_e32 v42, 0xc3080000, v40
	v_and_b32_e32 v40, 0x7f800000, v42
	v_cmp_ne_u32_e64 s[0:1], s6, v40
                                        ; implicit-def: $vgpr40
	s_and_saveexec_b64 s[30:31], s[0:1]
	s_xor_b64 s[0:1], exec, s[30:31]
; %bb.20:                               ;   in Loop: Header=BB1_3 Depth=1
	v_bfe_u32 v40, v42, 16, 1
	v_add3_u32 v40, v42, v40, s35
                                        ; implicit-def: $vgpr42
; %bb.21:                               ;   in Loop: Header=BB1_3 Depth=1
	s_andn2_saveexec_b64 s[30:31], s[0:1]
; %bb.22:                               ;   in Loop: Header=BB1_3 Depth=1
	v_or_b32_e32 v40, 0x10000, v42
	v_cmp_eq_u32_sdwa s[0:1], v42, v35 src0_sel:WORD_0 src1_sel:DWORD
	v_cndmask_b32_e64 v40, v40, v42, s[0:1]
; %bb.23:                               ;   in Loop: Header=BB1_3 Depth=1
	s_or_b64 exec, exec, s[30:31]
	v_and_b32_e32 v41, 0xffff0000, v41
	v_add_f32_e32 v42, 0xc3080000, v41
	v_and_b32_e32 v41, 0x7f800000, v42
	v_cmp_ne_u32_e64 s[0:1], s6, v41
                                        ; implicit-def: $vgpr41
	s_and_saveexec_b64 s[30:31], s[0:1]
	s_xor_b64 s[0:1], exec, s[30:31]
; %bb.24:                               ;   in Loop: Header=BB1_3 Depth=1
	v_bfe_u32 v41, v42, 16, 1
	v_add3_u32 v41, v42, v41, s35
                                        ; implicit-def: $vgpr42
; %bb.25:                               ;   in Loop: Header=BB1_3 Depth=1
	s_andn2_saveexec_b64 s[30:31], s[0:1]
; %bb.26:                               ;   in Loop: Header=BB1_3 Depth=1
	v_or_b32_e32 v41, 0x10000, v42
	v_cmp_eq_u32_sdwa s[0:1], v42, v35 src0_sel:WORD_0 src1_sel:DWORD
	v_cndmask_b32_e64 v41, v41, v42, s[0:1]
; %bb.27:                               ;   in Loop: Header=BB1_3 Depth=1
	s_or_b64 exec, exec, s[30:31]
	v_lshlrev_b32_e32 v42, 16, v43
	v_add_f32_e32 v44, 0xc3080000, v42
	v_and_b32_e32 v42, 0x7f800000, v44
	v_cmp_ne_u32_e64 s[0:1], s6, v42
                                        ; implicit-def: $vgpr42
	s_and_saveexec_b64 s[30:31], s[0:1]
	s_xor_b64 s[0:1], exec, s[30:31]
; %bb.28:                               ;   in Loop: Header=BB1_3 Depth=1
	v_bfe_u32 v42, v44, 16, 1
	v_add3_u32 v42, v44, v42, s35
                                        ; implicit-def: $vgpr44
; %bb.29:                               ;   in Loop: Header=BB1_3 Depth=1
	s_andn2_saveexec_b64 s[30:31], s[0:1]
; %bb.30:                               ;   in Loop: Header=BB1_3 Depth=1
	v_or_b32_e32 v42, 0x10000, v44
	v_cmp_eq_u32_sdwa s[0:1], v44, v35 src0_sel:WORD_0 src1_sel:DWORD
	v_cndmask_b32_e64 v42, v42, v44, s[0:1]
; %bb.31:                               ;   in Loop: Header=BB1_3 Depth=1
	s_or_b64 exec, exec, s[30:31]
	v_and_b32_e32 v43, 0xffff0000, v43
	v_add_f32_e32 v44, 0xc3080000, v43
	v_and_b32_e32 v43, 0x7f800000, v44
	v_cmp_ne_u32_e64 s[0:1], s6, v43
                                        ; implicit-def: $vgpr43
	s_and_saveexec_b64 s[30:31], s[0:1]
	s_xor_b64 s[0:1], exec, s[30:31]
; %bb.32:                               ;   in Loop: Header=BB1_3 Depth=1
	v_bfe_u32 v43, v44, 16, 1
	v_add3_u32 v43, v44, v43, s35
                                        ; implicit-def: $vgpr44
; %bb.33:                               ;   in Loop: Header=BB1_3 Depth=1
	s_andn2_saveexec_b64 s[30:31], s[0:1]
; %bb.34:                               ;   in Loop: Header=BB1_3 Depth=1
	v_or_b32_e32 v43, 0x10000, v44
	v_cmp_eq_u32_sdwa s[0:1], v44, v35 src0_sel:WORD_0 src1_sel:DWORD
	v_cndmask_b32_e64 v43, v43, v44, s[0:1]
; %bb.35:                               ;   in Loop: Header=BB1_3 Depth=1
	s_or_b64 exec, exec, s[30:31]
	v_lshlrev_b32_e32 v44, 16, v47
	v_add_f32_e32 v48, 0xc3080000, v44
	v_and_b32_e32 v44, 0x7f800000, v48
	v_cmp_ne_u32_e64 s[0:1], s6, v44
                                        ; implicit-def: $vgpr44
	s_and_saveexec_b64 s[30:31], s[0:1]
	s_xor_b64 s[0:1], exec, s[30:31]
; %bb.36:                               ;   in Loop: Header=BB1_3 Depth=1
	v_bfe_u32 v44, v48, 16, 1
	v_add3_u32 v44, v48, v44, s35
                                        ; implicit-def: $vgpr48
; %bb.37:                               ;   in Loop: Header=BB1_3 Depth=1
	s_andn2_saveexec_b64 s[30:31], s[0:1]
; %bb.38:                               ;   in Loop: Header=BB1_3 Depth=1
	v_or_b32_e32 v44, 0x10000, v48
	v_cmp_eq_u32_sdwa s[0:1], v48, v35 src0_sel:WORD_0 src1_sel:DWORD
	v_cndmask_b32_e64 v44, v44, v48, s[0:1]
; %bb.39:                               ;   in Loop: Header=BB1_3 Depth=1
	s_or_b64 exec, exec, s[30:31]
	v_and_b32_e32 v47, 0xffff0000, v47
	v_add_f32_e32 v47, 0xc3080000, v47
	v_and_b32_e32 v48, 0x7f800000, v47
	v_cmp_ne_u32_e64 s[0:1], s6, v48
                                        ; implicit-def: $vgpr48
	s_and_saveexec_b64 s[30:31], s[0:1]
	s_xor_b64 s[0:1], exec, s[30:31]
; %bb.40:                               ;   in Loop: Header=BB1_3 Depth=1
	v_bfe_u32 v48, v47, 16, 1
	v_add3_u32 v48, v47, v48, s35
                                        ; implicit-def: $vgpr47
; %bb.41:                               ;   in Loop: Header=BB1_3 Depth=1
	s_andn2_saveexec_b64 s[30:31], s[0:1]
; %bb.42:                               ;   in Loop: Header=BB1_3 Depth=1
	v_or_b32_e32 v48, 0x10000, v47
	v_cmp_eq_u32_sdwa s[0:1], v47, v35 src0_sel:WORD_0 src1_sel:DWORD
	v_cndmask_b32_e64 v48, v48, v47, s[0:1]
; %bb.43:                               ;   in Loop: Header=BB1_3 Depth=1
	s_or_b64 exec, exec, s[30:31]
	v_and_b32_e32 v24, 0xffff0000, v24
	s_waitcnt vmcnt(3)
	v_lshlrev_b32_e32 v49, 16, v38
	v_and_b32_e32 v47, 0xffff0000, v38
	v_fma_f32 v38, v24, v49, v47
	v_and_b32_e32 v24, 0x7f800000, v38
	v_cmp_ne_u32_e64 s[0:1], s6, v24
                                        ; implicit-def: $vgpr24
	s_and_saveexec_b64 s[30:31], s[0:1]
	s_xor_b64 s[0:1], exec, s[30:31]
; %bb.44:                               ;   in Loop: Header=BB1_3 Depth=1
	v_bfe_u32 v24, v38, 16, 1
	v_add3_u32 v24, v38, v24, s35
                                        ; implicit-def: $vgpr38
; %bb.45:                               ;   in Loop: Header=BB1_3 Depth=1
	s_andn2_saveexec_b64 s[30:31], s[0:1]
; %bb.46:                               ;   in Loop: Header=BB1_3 Depth=1
	v_or_b32_e32 v24, 0x10000, v38
	v_cmp_eq_u32_sdwa s[0:1], v38, v35 src0_sel:WORD_0 src1_sel:DWORD
	v_cndmask_b32_e64 v24, v24, v38, s[0:1]
; %bb.47:                               ;   in Loop: Header=BB1_3 Depth=1
	s_or_b64 exec, exec, s[30:31]
	v_and_b32_e32 v38, 0xffff0000, v39
	v_fma_f32 v39, v38, v49, v47
	v_and_b32_e32 v38, 0x7f800000, v39
	v_cmp_ne_u32_e64 s[0:1], s6, v38
                                        ; implicit-def: $vgpr38
	s_and_saveexec_b64 s[30:31], s[0:1]
	s_xor_b64 s[0:1], exec, s[30:31]
; %bb.48:                               ;   in Loop: Header=BB1_3 Depth=1
	v_bfe_u32 v38, v39, 16, 1
	v_add3_u32 v38, v39, v38, s35
                                        ; implicit-def: $vgpr39
; %bb.49:                               ;   in Loop: Header=BB1_3 Depth=1
	s_andn2_saveexec_b64 s[30:31], s[0:1]
; %bb.50:                               ;   in Loop: Header=BB1_3 Depth=1
	v_or_b32_e32 v38, 0x10000, v39
	v_cmp_eq_u32_sdwa s[0:1], v39, v35 src0_sel:WORD_0 src1_sel:DWORD
	v_cndmask_b32_e64 v38, v38, v39, s[0:1]
; %bb.51:                               ;   in Loop: Header=BB1_3 Depth=1
	s_or_b64 exec, exec, s[30:31]
	v_and_b32_e32 v39, 0xffff0000, v40
	v_fma_f32 v40, v39, v49, v47
	v_and_b32_e32 v39, 0x7f800000, v40
	v_cmp_ne_u32_e64 s[0:1], s6, v39
                                        ; implicit-def: $vgpr39
	s_and_saveexec_b64 s[30:31], s[0:1]
	s_xor_b64 s[0:1], exec, s[30:31]
; %bb.52:                               ;   in Loop: Header=BB1_3 Depth=1
	v_bfe_u32 v39, v40, 16, 1
	v_add3_u32 v39, v40, v39, s35
                                        ; implicit-def: $vgpr40
; %bb.53:                               ;   in Loop: Header=BB1_3 Depth=1
	s_andn2_saveexec_b64 s[30:31], s[0:1]
; %bb.54:                               ;   in Loop: Header=BB1_3 Depth=1
	v_or_b32_e32 v39, 0x10000, v40
	v_cmp_eq_u32_sdwa s[0:1], v40, v35 src0_sel:WORD_0 src1_sel:DWORD
	v_cndmask_b32_e64 v39, v39, v40, s[0:1]
; %bb.55:                               ;   in Loop: Header=BB1_3 Depth=1
	s_or_b64 exec, exec, s[30:31]
	v_and_b32_e32 v40, 0xffff0000, v41
	v_fma_f32 v41, v40, v49, v47
	v_and_b32_e32 v40, 0x7f800000, v41
	v_cmp_ne_u32_e64 s[0:1], s6, v40
                                        ; implicit-def: $vgpr40
	s_and_saveexec_b64 s[30:31], s[0:1]
	s_xor_b64 s[0:1], exec, s[30:31]
; %bb.56:                               ;   in Loop: Header=BB1_3 Depth=1
	v_bfe_u32 v40, v41, 16, 1
	v_add3_u32 v40, v41, v40, s35
                                        ; implicit-def: $vgpr41
; %bb.57:                               ;   in Loop: Header=BB1_3 Depth=1
	s_andn2_saveexec_b64 s[30:31], s[0:1]
; %bb.58:                               ;   in Loop: Header=BB1_3 Depth=1
	v_or_b32_e32 v40, 0x10000, v41
	v_cmp_eq_u32_sdwa s[0:1], v41, v35 src0_sel:WORD_0 src1_sel:DWORD
	v_cndmask_b32_e64 v40, v40, v41, s[0:1]
; %bb.59:                               ;   in Loop: Header=BB1_3 Depth=1
	s_or_b64 exec, exec, s[30:31]
	v_and_b32_e32 v41, 0xffff0000, v42
	v_fma_f32 v42, v41, v49, v47
	v_and_b32_e32 v41, 0x7f800000, v42
	v_cmp_ne_u32_e64 s[0:1], s6, v41
                                        ; implicit-def: $vgpr41
	s_and_saveexec_b64 s[30:31], s[0:1]
	s_xor_b64 s[0:1], exec, s[30:31]
; %bb.60:                               ;   in Loop: Header=BB1_3 Depth=1
	v_bfe_u32 v41, v42, 16, 1
	v_add3_u32 v41, v42, v41, s35
                                        ; implicit-def: $vgpr42
; %bb.61:                               ;   in Loop: Header=BB1_3 Depth=1
	s_andn2_saveexec_b64 s[30:31], s[0:1]
; %bb.62:                               ;   in Loop: Header=BB1_3 Depth=1
	v_or_b32_e32 v41, 0x10000, v42
	v_cmp_eq_u32_sdwa s[0:1], v42, v35 src0_sel:WORD_0 src1_sel:DWORD
	v_cndmask_b32_e64 v41, v41, v42, s[0:1]
; %bb.63:                               ;   in Loop: Header=BB1_3 Depth=1
	s_or_b64 exec, exec, s[30:31]
	v_and_b32_e32 v42, 0xffff0000, v43
	v_fma_f32 v43, v42, v49, v47
	v_and_b32_e32 v42, 0x7f800000, v43
	v_cmp_ne_u32_e64 s[0:1], s6, v42
                                        ; implicit-def: $vgpr42
	s_and_saveexec_b64 s[30:31], s[0:1]
	s_xor_b64 s[0:1], exec, s[30:31]
; %bb.64:                               ;   in Loop: Header=BB1_3 Depth=1
	v_bfe_u32 v42, v43, 16, 1
	v_add3_u32 v42, v43, v42, s35
                                        ; implicit-def: $vgpr43
; %bb.65:                               ;   in Loop: Header=BB1_3 Depth=1
	s_andn2_saveexec_b64 s[30:31], s[0:1]
; %bb.66:                               ;   in Loop: Header=BB1_3 Depth=1
	v_or_b32_e32 v42, 0x10000, v43
	v_cmp_eq_u32_sdwa s[0:1], v43, v35 src0_sel:WORD_0 src1_sel:DWORD
	v_cndmask_b32_e64 v42, v42, v43, s[0:1]
; %bb.67:                               ;   in Loop: Header=BB1_3 Depth=1
	s_or_b64 exec, exec, s[30:31]
	v_and_b32_e32 v43, 0xffff0000, v44
	v_fma_f32 v44, v43, v49, v47
	v_and_b32_e32 v43, 0x7f800000, v44
	v_cmp_ne_u32_e64 s[0:1], s6, v43
                                        ; implicit-def: $vgpr43
	s_and_saveexec_b64 s[30:31], s[0:1]
	s_xor_b64 s[0:1], exec, s[30:31]
; %bb.68:                               ;   in Loop: Header=BB1_3 Depth=1
	v_bfe_u32 v43, v44, 16, 1
	v_add3_u32 v43, v44, v43, s35
                                        ; implicit-def: $vgpr44
; %bb.69:                               ;   in Loop: Header=BB1_3 Depth=1
	s_andn2_saveexec_b64 s[30:31], s[0:1]
; %bb.70:                               ;   in Loop: Header=BB1_3 Depth=1
	v_or_b32_e32 v43, 0x10000, v44
	v_cmp_eq_u32_sdwa s[0:1], v44, v35 src0_sel:WORD_0 src1_sel:DWORD
	v_cndmask_b32_e64 v43, v43, v44, s[0:1]
; %bb.71:                               ;   in Loop: Header=BB1_3 Depth=1
	s_or_b64 exec, exec, s[30:31]
	v_and_b32_e32 v44, 0xffff0000, v48
	v_fmac_f32_e32 v47, v44, v49
	v_and_b32_e32 v44, 0x7f800000, v47
	v_cmp_ne_u32_e64 s[0:1], s6, v44
                                        ; implicit-def: $vgpr44
	s_and_saveexec_b64 s[30:31], s[0:1]
	s_xor_b64 s[0:1], exec, s[30:31]
; %bb.72:                               ;   in Loop: Header=BB1_3 Depth=1
	v_bfe_u32 v44, v47, 16, 1
	v_add3_u32 v44, v47, v44, s35
                                        ; implicit-def: $vgpr47
; %bb.73:                               ;   in Loop: Header=BB1_3 Depth=1
	s_andn2_saveexec_b64 s[30:31], s[0:1]
; %bb.74:                               ;   in Loop: Header=BB1_3 Depth=1
	v_or_b32_e32 v44, 0x10000, v47
	v_cmp_eq_u32_sdwa s[0:1], v47, v35 src0_sel:WORD_0 src1_sel:DWORD
	v_cndmask_b32_e64 v44, v44, v47, s[0:1]
; %bb.75:                               ;   in Loop: Header=BB1_3 Depth=1
	s_or_b64 exec, exec, s[30:31]
	v_lshrrev_b32_e32 v48, 4, v25
	;;#ASMSTART
	v_and_or_b32 v47, v25, v36, v37
	;;#ASMEND
	;;#ASMSTART
	v_and_or_b32 v49, v48, v36, v37
	;;#ASMEND
	v_lshrrev_b32_e32 v48, 8, v25
	v_lshrrev_b32_e32 v25, 12, v25
	;;#ASMSTART
	v_and_or_b32 v51, v48, v36, v37
	;;#ASMEND
	;;#ASMSTART
	v_and_or_b32 v53, v25, v36, v37
	;;#ASMEND
	v_lshlrev_b32_e32 v25, 16, v47
	v_add_f32_e32 v48, 0xc3080000, v25
	v_and_b32_e32 v25, 0x7f800000, v48
	v_cmp_ne_u32_e64 s[0:1], s6, v25
                                        ; implicit-def: $vgpr25
	s_and_saveexec_b64 s[30:31], s[0:1]
	s_xor_b64 s[0:1], exec, s[30:31]
; %bb.76:                               ;   in Loop: Header=BB1_3 Depth=1
	v_bfe_u32 v25, v48, 16, 1
	v_add3_u32 v25, v48, v25, s35
                                        ; implicit-def: $vgpr48
; %bb.77:                               ;   in Loop: Header=BB1_3 Depth=1
	s_andn2_saveexec_b64 s[30:31], s[0:1]
; %bb.78:                               ;   in Loop: Header=BB1_3 Depth=1
	v_or_b32_e32 v25, 0x10000, v48
	v_cmp_eq_u32_sdwa s[0:1], v48, v35 src0_sel:WORD_0 src1_sel:DWORD
	v_cndmask_b32_e64 v25, v25, v48, s[0:1]
; %bb.79:                               ;   in Loop: Header=BB1_3 Depth=1
	s_or_b64 exec, exec, s[30:31]
	v_and_b32_e32 v47, 0xffff0000, v47
	v_add_f32_e32 v48, 0xc3080000, v47
	v_and_b32_e32 v47, 0x7f800000, v48
	v_cmp_ne_u32_e64 s[0:1], s6, v47
                                        ; implicit-def: $vgpr47
	s_and_saveexec_b64 s[30:31], s[0:1]
	s_xor_b64 s[0:1], exec, s[30:31]
; %bb.80:                               ;   in Loop: Header=BB1_3 Depth=1
	v_bfe_u32 v47, v48, 16, 1
	v_add3_u32 v47, v48, v47, s35
                                        ; implicit-def: $vgpr48
; %bb.81:                               ;   in Loop: Header=BB1_3 Depth=1
	s_andn2_saveexec_b64 s[30:31], s[0:1]
; %bb.82:                               ;   in Loop: Header=BB1_3 Depth=1
	v_or_b32_e32 v47, 0x10000, v48
	v_cmp_eq_u32_sdwa s[0:1], v48, v35 src0_sel:WORD_0 src1_sel:DWORD
	v_cndmask_b32_e64 v47, v47, v48, s[0:1]
; %bb.83:                               ;   in Loop: Header=BB1_3 Depth=1
	s_or_b64 exec, exec, s[30:31]
	v_lshlrev_b32_e32 v48, 16, v49
	v_add_f32_e32 v50, 0xc3080000, v48
	v_and_b32_e32 v48, 0x7f800000, v50
	v_cmp_ne_u32_e64 s[0:1], s6, v48
                                        ; implicit-def: $vgpr48
	s_and_saveexec_b64 s[30:31], s[0:1]
	s_xor_b64 s[0:1], exec, s[30:31]
; %bb.84:                               ;   in Loop: Header=BB1_3 Depth=1
	v_bfe_u32 v48, v50, 16, 1
	v_add3_u32 v48, v50, v48, s35
                                        ; implicit-def: $vgpr50
; %bb.85:                               ;   in Loop: Header=BB1_3 Depth=1
	s_andn2_saveexec_b64 s[30:31], s[0:1]
; %bb.86:                               ;   in Loop: Header=BB1_3 Depth=1
	v_or_b32_e32 v48, 0x10000, v50
	v_cmp_eq_u32_sdwa s[0:1], v50, v35 src0_sel:WORD_0 src1_sel:DWORD
	v_cndmask_b32_e64 v48, v48, v50, s[0:1]
; %bb.87:                               ;   in Loop: Header=BB1_3 Depth=1
	s_or_b64 exec, exec, s[30:31]
	v_and_b32_e32 v49, 0xffff0000, v49
	v_add_f32_e32 v50, 0xc3080000, v49
	v_and_b32_e32 v49, 0x7f800000, v50
	v_cmp_ne_u32_e64 s[0:1], s6, v49
                                        ; implicit-def: $vgpr49
	s_and_saveexec_b64 s[30:31], s[0:1]
	s_xor_b64 s[0:1], exec, s[30:31]
; %bb.88:                               ;   in Loop: Header=BB1_3 Depth=1
	v_bfe_u32 v49, v50, 16, 1
	v_add3_u32 v49, v50, v49, s35
                                        ; implicit-def: $vgpr50
; %bb.89:                               ;   in Loop: Header=BB1_3 Depth=1
	s_andn2_saveexec_b64 s[30:31], s[0:1]
; %bb.90:                               ;   in Loop: Header=BB1_3 Depth=1
	v_or_b32_e32 v49, 0x10000, v50
	v_cmp_eq_u32_sdwa s[0:1], v50, v35 src0_sel:WORD_0 src1_sel:DWORD
	v_cndmask_b32_e64 v49, v49, v50, s[0:1]
; %bb.91:                               ;   in Loop: Header=BB1_3 Depth=1
	s_or_b64 exec, exec, s[30:31]
	v_lshlrev_b32_e32 v50, 16, v51
	v_add_f32_e32 v52, 0xc3080000, v50
	v_and_b32_e32 v50, 0x7f800000, v52
	v_cmp_ne_u32_e64 s[0:1], s6, v50
                                        ; implicit-def: $vgpr50
	s_and_saveexec_b64 s[30:31], s[0:1]
	s_xor_b64 s[0:1], exec, s[30:31]
; %bb.92:                               ;   in Loop: Header=BB1_3 Depth=1
	v_bfe_u32 v50, v52, 16, 1
	v_add3_u32 v50, v52, v50, s35
                                        ; implicit-def: $vgpr52
; %bb.93:                               ;   in Loop: Header=BB1_3 Depth=1
	s_andn2_saveexec_b64 s[30:31], s[0:1]
; %bb.94:                               ;   in Loop: Header=BB1_3 Depth=1
	v_or_b32_e32 v50, 0x10000, v52
	v_cmp_eq_u32_sdwa s[0:1], v52, v35 src0_sel:WORD_0 src1_sel:DWORD
	v_cndmask_b32_e64 v50, v50, v52, s[0:1]
; %bb.95:                               ;   in Loop: Header=BB1_3 Depth=1
	s_or_b64 exec, exec, s[30:31]
	v_and_b32_e32 v51, 0xffff0000, v51
	v_add_f32_e32 v52, 0xc3080000, v51
	v_and_b32_e32 v51, 0x7f800000, v52
	v_cmp_ne_u32_e64 s[0:1], s6, v51
                                        ; implicit-def: $vgpr51
	s_and_saveexec_b64 s[30:31], s[0:1]
	s_xor_b64 s[0:1], exec, s[30:31]
; %bb.96:                               ;   in Loop: Header=BB1_3 Depth=1
	v_bfe_u32 v51, v52, 16, 1
	v_add3_u32 v51, v52, v51, s35
                                        ; implicit-def: $vgpr52
; %bb.97:                               ;   in Loop: Header=BB1_3 Depth=1
	s_andn2_saveexec_b64 s[30:31], s[0:1]
; %bb.98:                               ;   in Loop: Header=BB1_3 Depth=1
	v_or_b32_e32 v51, 0x10000, v52
	v_cmp_eq_u32_sdwa s[0:1], v52, v35 src0_sel:WORD_0 src1_sel:DWORD
	v_cndmask_b32_e64 v51, v51, v52, s[0:1]
; %bb.99:                               ;   in Loop: Header=BB1_3 Depth=1
	s_or_b64 exec, exec, s[30:31]
	v_lshlrev_b32_e32 v52, 16, v53
	v_add_f32_e32 v54, 0xc3080000, v52
	v_and_b32_e32 v52, 0x7f800000, v54
	v_cmp_ne_u32_e64 s[0:1], s6, v52
                                        ; implicit-def: $vgpr52
	s_and_saveexec_b64 s[30:31], s[0:1]
	s_xor_b64 s[0:1], exec, s[30:31]
; %bb.100:                              ;   in Loop: Header=BB1_3 Depth=1
	v_bfe_u32 v52, v54, 16, 1
	v_add3_u32 v52, v54, v52, s35
                                        ; implicit-def: $vgpr54
; %bb.101:                              ;   in Loop: Header=BB1_3 Depth=1
	s_andn2_saveexec_b64 s[30:31], s[0:1]
; %bb.102:                              ;   in Loop: Header=BB1_3 Depth=1
	v_or_b32_e32 v52, 0x10000, v54
	v_cmp_eq_u32_sdwa s[0:1], v54, v35 src0_sel:WORD_0 src1_sel:DWORD
	v_cndmask_b32_e64 v52, v52, v54, s[0:1]
; %bb.103:                              ;   in Loop: Header=BB1_3 Depth=1
	s_or_b64 exec, exec, s[30:31]
	v_and_b32_e32 v53, 0xffff0000, v53
	v_add_f32_e32 v53, 0xc3080000, v53
	v_and_b32_e32 v54, 0x7f800000, v53
	v_cmp_ne_u32_e64 s[0:1], s6, v54
                                        ; implicit-def: $vgpr54
	s_and_saveexec_b64 s[30:31], s[0:1]
	s_xor_b64 s[0:1], exec, s[30:31]
; %bb.104:                              ;   in Loop: Header=BB1_3 Depth=1
	v_bfe_u32 v54, v53, 16, 1
	v_add3_u32 v54, v53, v54, s35
                                        ; implicit-def: $vgpr53
; %bb.105:                              ;   in Loop: Header=BB1_3 Depth=1
	s_andn2_saveexec_b64 s[30:31], s[0:1]
; %bb.106:                              ;   in Loop: Header=BB1_3 Depth=1
	v_or_b32_e32 v54, 0x10000, v53
	v_cmp_eq_u32_sdwa s[0:1], v53, v35 src0_sel:WORD_0 src1_sel:DWORD
	v_cndmask_b32_e64 v54, v54, v53, s[0:1]
; %bb.107:                              ;   in Loop: Header=BB1_3 Depth=1
	s_or_b64 exec, exec, s[30:31]
	v_and_b32_e32 v25, 0xffff0000, v25
	s_waitcnt vmcnt(2)
	v_lshlrev_b32_e32 v55, 16, v46
	v_and_b32_e32 v53, 0xffff0000, v46
	v_fma_f32 v46, v25, v55, v53
	v_and_b32_e32 v25, 0x7f800000, v46
	v_cmp_ne_u32_e64 s[0:1], s6, v25
                                        ; implicit-def: $vgpr25
	s_and_saveexec_b64 s[30:31], s[0:1]
	s_xor_b64 s[0:1], exec, s[30:31]
; %bb.108:                              ;   in Loop: Header=BB1_3 Depth=1
	v_bfe_u32 v25, v46, 16, 1
	v_add3_u32 v25, v46, v25, s35
                                        ; implicit-def: $vgpr46
; %bb.109:                              ;   in Loop: Header=BB1_3 Depth=1
	s_andn2_saveexec_b64 s[30:31], s[0:1]
; %bb.110:                              ;   in Loop: Header=BB1_3 Depth=1
	v_or_b32_e32 v25, 0x10000, v46
	v_cmp_eq_u32_sdwa s[0:1], v46, v35 src0_sel:WORD_0 src1_sel:DWORD
	v_cndmask_b32_e64 v25, v25, v46, s[0:1]
; %bb.111:                              ;   in Loop: Header=BB1_3 Depth=1
	s_or_b64 exec, exec, s[30:31]
	v_and_b32_e32 v46, 0xffff0000, v47
	v_fma_f32 v47, v46, v55, v53
	v_and_b32_e32 v46, 0x7f800000, v47
	v_cmp_ne_u32_e64 s[0:1], s6, v46
                                        ; implicit-def: $vgpr46
	s_and_saveexec_b64 s[30:31], s[0:1]
	s_xor_b64 s[0:1], exec, s[30:31]
; %bb.112:                              ;   in Loop: Header=BB1_3 Depth=1
	v_bfe_u32 v46, v47, 16, 1
	v_add3_u32 v46, v47, v46, s35
                                        ; implicit-def: $vgpr47
; %bb.113:                              ;   in Loop: Header=BB1_3 Depth=1
	s_andn2_saveexec_b64 s[30:31], s[0:1]
; %bb.114:                              ;   in Loop: Header=BB1_3 Depth=1
	v_or_b32_e32 v46, 0x10000, v47
	v_cmp_eq_u32_sdwa s[0:1], v47, v35 src0_sel:WORD_0 src1_sel:DWORD
	v_cndmask_b32_e64 v46, v46, v47, s[0:1]
; %bb.115:                              ;   in Loop: Header=BB1_3 Depth=1
	s_or_b64 exec, exec, s[30:31]
	v_and_b32_e32 v47, 0xffff0000, v48
	v_fma_f32 v48, v47, v55, v53
	v_and_b32_e32 v47, 0x7f800000, v48
	v_cmp_ne_u32_e64 s[0:1], s6, v47
                                        ; implicit-def: $vgpr47
	s_and_saveexec_b64 s[30:31], s[0:1]
	s_xor_b64 s[0:1], exec, s[30:31]
; %bb.116:                              ;   in Loop: Header=BB1_3 Depth=1
	v_bfe_u32 v47, v48, 16, 1
	v_add3_u32 v47, v48, v47, s35
                                        ; implicit-def: $vgpr48
; %bb.117:                              ;   in Loop: Header=BB1_3 Depth=1
	s_andn2_saveexec_b64 s[30:31], s[0:1]
; %bb.118:                              ;   in Loop: Header=BB1_3 Depth=1
	v_or_b32_e32 v47, 0x10000, v48
	v_cmp_eq_u32_sdwa s[0:1], v48, v35 src0_sel:WORD_0 src1_sel:DWORD
	v_cndmask_b32_e64 v47, v47, v48, s[0:1]
; %bb.119:                              ;   in Loop: Header=BB1_3 Depth=1
	s_or_b64 exec, exec, s[30:31]
	v_and_b32_e32 v48, 0xffff0000, v49
	v_fma_f32 v49, v48, v55, v53
	v_and_b32_e32 v48, 0x7f800000, v49
	v_cmp_ne_u32_e64 s[0:1], s6, v48
                                        ; implicit-def: $vgpr48
	s_and_saveexec_b64 s[30:31], s[0:1]
	s_xor_b64 s[0:1], exec, s[30:31]
; %bb.120:                              ;   in Loop: Header=BB1_3 Depth=1
	v_bfe_u32 v48, v49, 16, 1
	v_add3_u32 v48, v49, v48, s35
                                        ; implicit-def: $vgpr49
; %bb.121:                              ;   in Loop: Header=BB1_3 Depth=1
	s_andn2_saveexec_b64 s[30:31], s[0:1]
; %bb.122:                              ;   in Loop: Header=BB1_3 Depth=1
	v_or_b32_e32 v48, 0x10000, v49
	v_cmp_eq_u32_sdwa s[0:1], v49, v35 src0_sel:WORD_0 src1_sel:DWORD
	v_cndmask_b32_e64 v48, v48, v49, s[0:1]
; %bb.123:                              ;   in Loop: Header=BB1_3 Depth=1
	s_or_b64 exec, exec, s[30:31]
	v_and_b32_e32 v49, 0xffff0000, v50
	v_fma_f32 v50, v49, v55, v53
	v_and_b32_e32 v49, 0x7f800000, v50
	v_cmp_ne_u32_e64 s[0:1], s6, v49
                                        ; implicit-def: $vgpr49
	s_and_saveexec_b64 s[30:31], s[0:1]
	s_xor_b64 s[0:1], exec, s[30:31]
; %bb.124:                              ;   in Loop: Header=BB1_3 Depth=1
	v_bfe_u32 v49, v50, 16, 1
	v_add3_u32 v49, v50, v49, s35
                                        ; implicit-def: $vgpr50
; %bb.125:                              ;   in Loop: Header=BB1_3 Depth=1
	s_andn2_saveexec_b64 s[30:31], s[0:1]
; %bb.126:                              ;   in Loop: Header=BB1_3 Depth=1
	v_or_b32_e32 v49, 0x10000, v50
	v_cmp_eq_u32_sdwa s[0:1], v50, v35 src0_sel:WORD_0 src1_sel:DWORD
	v_cndmask_b32_e64 v49, v49, v50, s[0:1]
; %bb.127:                              ;   in Loop: Header=BB1_3 Depth=1
	s_or_b64 exec, exec, s[30:31]
	v_and_b32_e32 v50, 0xffff0000, v51
	v_fma_f32 v51, v50, v55, v53
	v_and_b32_e32 v50, 0x7f800000, v51
	v_cmp_ne_u32_e64 s[0:1], s6, v50
                                        ; implicit-def: $vgpr50
	s_and_saveexec_b64 s[30:31], s[0:1]
	s_xor_b64 s[0:1], exec, s[30:31]
; %bb.128:                              ;   in Loop: Header=BB1_3 Depth=1
	v_bfe_u32 v50, v51, 16, 1
	v_add3_u32 v50, v51, v50, s35
                                        ; implicit-def: $vgpr51
; %bb.129:                              ;   in Loop: Header=BB1_3 Depth=1
	s_andn2_saveexec_b64 s[30:31], s[0:1]
; %bb.130:                              ;   in Loop: Header=BB1_3 Depth=1
	v_or_b32_e32 v50, 0x10000, v51
	v_cmp_eq_u32_sdwa s[0:1], v51, v35 src0_sel:WORD_0 src1_sel:DWORD
	v_cndmask_b32_e64 v50, v50, v51, s[0:1]
; %bb.131:                              ;   in Loop: Header=BB1_3 Depth=1
	s_or_b64 exec, exec, s[30:31]
	v_and_b32_e32 v51, 0xffff0000, v52
	v_fma_f32 v52, v51, v55, v53
	v_and_b32_e32 v51, 0x7f800000, v52
	v_cmp_ne_u32_e64 s[0:1], s6, v51
                                        ; implicit-def: $vgpr51
	s_and_saveexec_b64 s[30:31], s[0:1]
	s_xor_b64 s[0:1], exec, s[30:31]
; %bb.132:                              ;   in Loop: Header=BB1_3 Depth=1
	v_bfe_u32 v51, v52, 16, 1
	v_add3_u32 v51, v52, v51, s35
                                        ; implicit-def: $vgpr52
; %bb.133:                              ;   in Loop: Header=BB1_3 Depth=1
	s_andn2_saveexec_b64 s[30:31], s[0:1]
; %bb.134:                              ;   in Loop: Header=BB1_3 Depth=1
	v_or_b32_e32 v51, 0x10000, v52
	v_cmp_eq_u32_sdwa s[0:1], v52, v35 src0_sel:WORD_0 src1_sel:DWORD
	v_cndmask_b32_e64 v51, v51, v52, s[0:1]
; %bb.135:                              ;   in Loop: Header=BB1_3 Depth=1
	s_or_b64 exec, exec, s[30:31]
	v_and_b32_e32 v52, 0xffff0000, v54
	v_fmac_f32_e32 v53, v52, v55
	v_and_b32_e32 v52, 0x7f800000, v53
	v_cmp_ne_u32_e64 s[0:1], s6, v52
                                        ; implicit-def: $vgpr52
	s_and_saveexec_b64 s[30:31], s[0:1]
	s_xor_b64 s[0:1], exec, s[30:31]
; %bb.136:                              ;   in Loop: Header=BB1_3 Depth=1
	v_bfe_u32 v52, v53, 16, 1
	v_add3_u32 v52, v53, v52, s35
                                        ; implicit-def: $vgpr53
; %bb.137:                              ;   in Loop: Header=BB1_3 Depth=1
	s_andn2_saveexec_b64 s[30:31], s[0:1]
; %bb.138:                              ;   in Loop: Header=BB1_3 Depth=1
	v_or_b32_e32 v52, 0x10000, v53
	v_cmp_eq_u32_sdwa s[0:1], v53, v35 src0_sel:WORD_0 src1_sel:DWORD
	v_cndmask_b32_e64 v52, v52, v53, s[0:1]
; %bb.139:                              ;   in Loop: Header=BB1_3 Depth=1
	s_or_b64 exec, exec, s[30:31]
	v_lshrrev_b32_e32 v54, 4, v22
	;;#ASMSTART
	v_and_or_b32 v53, v22, v36, v37
	;;#ASMEND
	;;#ASMSTART
	v_and_or_b32 v55, v54, v36, v37
	;;#ASMEND
	v_lshrrev_b32_e32 v54, 8, v22
	v_lshrrev_b32_e32 v22, 12, v22
	;;#ASMSTART
	v_and_or_b32 v57, v54, v36, v37
	;;#ASMEND
	;;#ASMSTART
	v_and_or_b32 v59, v22, v36, v37
	;;#ASMEND
	v_lshlrev_b32_e32 v22, 16, v53
	v_add_f32_e32 v54, 0xc3080000, v22
	v_and_b32_e32 v22, 0x7f800000, v54
	v_cmp_ne_u32_e64 s[0:1], s6, v22
                                        ; implicit-def: $vgpr22
	s_and_saveexec_b64 s[30:31], s[0:1]
	s_xor_b64 s[0:1], exec, s[30:31]
; %bb.140:                              ;   in Loop: Header=BB1_3 Depth=1
	v_bfe_u32 v22, v54, 16, 1
	v_add3_u32 v22, v54, v22, s35
                                        ; implicit-def: $vgpr54
; %bb.141:                              ;   in Loop: Header=BB1_3 Depth=1
	s_andn2_saveexec_b64 s[30:31], s[0:1]
; %bb.142:                              ;   in Loop: Header=BB1_3 Depth=1
	v_or_b32_e32 v22, 0x10000, v54
	v_cmp_eq_u32_sdwa s[0:1], v54, v35 src0_sel:WORD_0 src1_sel:DWORD
	v_cndmask_b32_e64 v22, v22, v54, s[0:1]
; %bb.143:                              ;   in Loop: Header=BB1_3 Depth=1
	s_or_b64 exec, exec, s[30:31]
	v_and_b32_e32 v53, 0xffff0000, v53
	v_add_f32_e32 v54, 0xc3080000, v53
	v_and_b32_e32 v53, 0x7f800000, v54
	v_cmp_ne_u32_e64 s[0:1], s6, v53
                                        ; implicit-def: $vgpr53
	s_and_saveexec_b64 s[30:31], s[0:1]
	s_xor_b64 s[0:1], exec, s[30:31]
; %bb.144:                              ;   in Loop: Header=BB1_3 Depth=1
	v_bfe_u32 v53, v54, 16, 1
	v_add3_u32 v53, v54, v53, s35
                                        ; implicit-def: $vgpr54
; %bb.145:                              ;   in Loop: Header=BB1_3 Depth=1
	s_andn2_saveexec_b64 s[30:31], s[0:1]
; %bb.146:                              ;   in Loop: Header=BB1_3 Depth=1
	v_or_b32_e32 v53, 0x10000, v54
	v_cmp_eq_u32_sdwa s[0:1], v54, v35 src0_sel:WORD_0 src1_sel:DWORD
	v_cndmask_b32_e64 v53, v53, v54, s[0:1]
; %bb.147:                              ;   in Loop: Header=BB1_3 Depth=1
	s_or_b64 exec, exec, s[30:31]
	v_lshlrev_b32_e32 v54, 16, v55
	v_add_f32_e32 v56, 0xc3080000, v54
	v_and_b32_e32 v54, 0x7f800000, v56
	v_cmp_ne_u32_e64 s[0:1], s6, v54
                                        ; implicit-def: $vgpr54
	s_and_saveexec_b64 s[30:31], s[0:1]
	s_xor_b64 s[0:1], exec, s[30:31]
; %bb.148:                              ;   in Loop: Header=BB1_3 Depth=1
	v_bfe_u32 v54, v56, 16, 1
	v_add3_u32 v54, v56, v54, s35
                                        ; implicit-def: $vgpr56
; %bb.149:                              ;   in Loop: Header=BB1_3 Depth=1
	s_andn2_saveexec_b64 s[30:31], s[0:1]
; %bb.150:                              ;   in Loop: Header=BB1_3 Depth=1
	v_or_b32_e32 v54, 0x10000, v56
	v_cmp_eq_u32_sdwa s[0:1], v56, v35 src0_sel:WORD_0 src1_sel:DWORD
	v_cndmask_b32_e64 v54, v54, v56, s[0:1]
; %bb.151:                              ;   in Loop: Header=BB1_3 Depth=1
	s_or_b64 exec, exec, s[30:31]
	v_and_b32_e32 v55, 0xffff0000, v55
	v_add_f32_e32 v56, 0xc3080000, v55
	v_and_b32_e32 v55, 0x7f800000, v56
	v_cmp_ne_u32_e64 s[0:1], s6, v55
                                        ; implicit-def: $vgpr55
	s_and_saveexec_b64 s[30:31], s[0:1]
	s_xor_b64 s[0:1], exec, s[30:31]
; %bb.152:                              ;   in Loop: Header=BB1_3 Depth=1
	v_bfe_u32 v55, v56, 16, 1
	v_add3_u32 v55, v56, v55, s35
                                        ; implicit-def: $vgpr56
; %bb.153:                              ;   in Loop: Header=BB1_3 Depth=1
	s_andn2_saveexec_b64 s[30:31], s[0:1]
; %bb.154:                              ;   in Loop: Header=BB1_3 Depth=1
	v_or_b32_e32 v55, 0x10000, v56
	v_cmp_eq_u32_sdwa s[0:1], v56, v35 src0_sel:WORD_0 src1_sel:DWORD
	v_cndmask_b32_e64 v55, v55, v56, s[0:1]
; %bb.155:                              ;   in Loop: Header=BB1_3 Depth=1
	s_or_b64 exec, exec, s[30:31]
	v_lshlrev_b32_e32 v56, 16, v57
	v_add_f32_e32 v58, 0xc3080000, v56
	v_and_b32_e32 v56, 0x7f800000, v58
	v_cmp_ne_u32_e64 s[0:1], s6, v56
                                        ; implicit-def: $vgpr56
	s_and_saveexec_b64 s[30:31], s[0:1]
	s_xor_b64 s[0:1], exec, s[30:31]
; %bb.156:                              ;   in Loop: Header=BB1_3 Depth=1
	v_bfe_u32 v56, v58, 16, 1
	v_add3_u32 v56, v58, v56, s35
                                        ; implicit-def: $vgpr58
; %bb.157:                              ;   in Loop: Header=BB1_3 Depth=1
	s_andn2_saveexec_b64 s[30:31], s[0:1]
; %bb.158:                              ;   in Loop: Header=BB1_3 Depth=1
	v_or_b32_e32 v56, 0x10000, v58
	v_cmp_eq_u32_sdwa s[0:1], v58, v35 src0_sel:WORD_0 src1_sel:DWORD
	v_cndmask_b32_e64 v56, v56, v58, s[0:1]
; %bb.159:                              ;   in Loop: Header=BB1_3 Depth=1
	s_or_b64 exec, exec, s[30:31]
	v_and_b32_e32 v57, 0xffff0000, v57
	v_add_f32_e32 v58, 0xc3080000, v57
	v_and_b32_e32 v57, 0x7f800000, v58
	v_cmp_ne_u32_e64 s[0:1], s6, v57
                                        ; implicit-def: $vgpr57
	s_and_saveexec_b64 s[30:31], s[0:1]
	s_xor_b64 s[0:1], exec, s[30:31]
; %bb.160:                              ;   in Loop: Header=BB1_3 Depth=1
	v_bfe_u32 v57, v58, 16, 1
	v_add3_u32 v57, v58, v57, s35
                                        ; implicit-def: $vgpr58
; %bb.161:                              ;   in Loop: Header=BB1_3 Depth=1
	s_andn2_saveexec_b64 s[30:31], s[0:1]
; %bb.162:                              ;   in Loop: Header=BB1_3 Depth=1
	v_or_b32_e32 v57, 0x10000, v58
	v_cmp_eq_u32_sdwa s[0:1], v58, v35 src0_sel:WORD_0 src1_sel:DWORD
	v_cndmask_b32_e64 v57, v57, v58, s[0:1]
; %bb.163:                              ;   in Loop: Header=BB1_3 Depth=1
	s_or_b64 exec, exec, s[30:31]
	v_lshlrev_b32_e32 v58, 16, v59
	v_add_f32_e32 v60, 0xc3080000, v58
	v_and_b32_e32 v58, 0x7f800000, v60
	v_cmp_ne_u32_e64 s[0:1], s6, v58
                                        ; implicit-def: $vgpr58
	s_and_saveexec_b64 s[30:31], s[0:1]
	s_xor_b64 s[0:1], exec, s[30:31]
; %bb.164:                              ;   in Loop: Header=BB1_3 Depth=1
	v_bfe_u32 v58, v60, 16, 1
	v_add3_u32 v58, v60, v58, s35
                                        ; implicit-def: $vgpr60
; %bb.165:                              ;   in Loop: Header=BB1_3 Depth=1
	s_andn2_saveexec_b64 s[30:31], s[0:1]
; %bb.166:                              ;   in Loop: Header=BB1_3 Depth=1
	v_or_b32_e32 v58, 0x10000, v60
	v_cmp_eq_u32_sdwa s[0:1], v60, v35 src0_sel:WORD_0 src1_sel:DWORD
	v_cndmask_b32_e64 v58, v58, v60, s[0:1]
; %bb.167:                              ;   in Loop: Header=BB1_3 Depth=1
	s_or_b64 exec, exec, s[30:31]
	v_and_b32_e32 v59, 0xffff0000, v59
	v_add_f32_e32 v59, 0xc3080000, v59
	v_and_b32_e32 v60, 0x7f800000, v59
	v_cmp_ne_u32_e64 s[0:1], s6, v60
                                        ; implicit-def: $vgpr60
	s_and_saveexec_b64 s[30:31], s[0:1]
	s_xor_b64 s[0:1], exec, s[30:31]
; %bb.168:                              ;   in Loop: Header=BB1_3 Depth=1
	v_bfe_u32 v60, v59, 16, 1
	v_add3_u32 v60, v59, v60, s35
                                        ; implicit-def: $vgpr59
; %bb.169:                              ;   in Loop: Header=BB1_3 Depth=1
	s_andn2_saveexec_b64 s[30:31], s[0:1]
; %bb.170:                              ;   in Loop: Header=BB1_3 Depth=1
	v_or_b32_e32 v60, 0x10000, v59
	v_cmp_eq_u32_sdwa s[0:1], v59, v35 src0_sel:WORD_0 src1_sel:DWORD
	v_cndmask_b32_e64 v60, v60, v59, s[0:1]
; %bb.171:                              ;   in Loop: Header=BB1_3 Depth=1
	s_or_b64 exec, exec, s[30:31]
	v_and_b32_e32 v22, 0xffff0000, v22
	s_waitcnt vmcnt(1)
	v_lshlrev_b32_e32 v61, 16, v45
	v_and_b32_e32 v59, 0xffff0000, v45
	v_fma_f32 v45, v22, v61, v59
	v_and_b32_e32 v22, 0x7f800000, v45
	v_cmp_ne_u32_e64 s[0:1], s6, v22
                                        ; implicit-def: $vgpr22
	s_and_saveexec_b64 s[30:31], s[0:1]
	s_xor_b64 s[0:1], exec, s[30:31]
; %bb.172:                              ;   in Loop: Header=BB1_3 Depth=1
	v_bfe_u32 v22, v45, 16, 1
	v_add3_u32 v22, v45, v22, s35
                                        ; implicit-def: $vgpr45
; %bb.173:                              ;   in Loop: Header=BB1_3 Depth=1
	s_andn2_saveexec_b64 s[30:31], s[0:1]
; %bb.174:                              ;   in Loop: Header=BB1_3 Depth=1
	v_or_b32_e32 v22, 0x10000, v45
	v_cmp_eq_u32_sdwa s[0:1], v45, v35 src0_sel:WORD_0 src1_sel:DWORD
	v_cndmask_b32_e64 v22, v22, v45, s[0:1]
; %bb.175:                              ;   in Loop: Header=BB1_3 Depth=1
	s_or_b64 exec, exec, s[30:31]
	v_and_b32_e32 v45, 0xffff0000, v53
	v_fma_f32 v53, v45, v61, v59
	v_and_b32_e32 v45, 0x7f800000, v53
	v_cmp_ne_u32_e64 s[0:1], s6, v45
                                        ; implicit-def: $vgpr45
	s_and_saveexec_b64 s[30:31], s[0:1]
	s_xor_b64 s[0:1], exec, s[30:31]
; %bb.176:                              ;   in Loop: Header=BB1_3 Depth=1
	v_bfe_u32 v45, v53, 16, 1
	v_add3_u32 v45, v53, v45, s35
                                        ; implicit-def: $vgpr53
; %bb.177:                              ;   in Loop: Header=BB1_3 Depth=1
	s_andn2_saveexec_b64 s[30:31], s[0:1]
; %bb.178:                              ;   in Loop: Header=BB1_3 Depth=1
	v_or_b32_e32 v45, 0x10000, v53
	v_cmp_eq_u32_sdwa s[0:1], v53, v35 src0_sel:WORD_0 src1_sel:DWORD
	v_cndmask_b32_e64 v45, v45, v53, s[0:1]
; %bb.179:                              ;   in Loop: Header=BB1_3 Depth=1
	s_or_b64 exec, exec, s[30:31]
	v_and_b32_e32 v53, 0xffff0000, v54
	v_fma_f32 v54, v53, v61, v59
	v_and_b32_e32 v53, 0x7f800000, v54
	v_cmp_ne_u32_e64 s[0:1], s6, v53
                                        ; implicit-def: $vgpr53
	s_and_saveexec_b64 s[30:31], s[0:1]
	s_xor_b64 s[0:1], exec, s[30:31]
; %bb.180:                              ;   in Loop: Header=BB1_3 Depth=1
	v_bfe_u32 v53, v54, 16, 1
	v_add3_u32 v53, v54, v53, s35
                                        ; implicit-def: $vgpr54
; %bb.181:                              ;   in Loop: Header=BB1_3 Depth=1
	s_andn2_saveexec_b64 s[30:31], s[0:1]
; %bb.182:                              ;   in Loop: Header=BB1_3 Depth=1
	v_or_b32_e32 v53, 0x10000, v54
	v_cmp_eq_u32_sdwa s[0:1], v54, v35 src0_sel:WORD_0 src1_sel:DWORD
	v_cndmask_b32_e64 v53, v53, v54, s[0:1]
; %bb.183:                              ;   in Loop: Header=BB1_3 Depth=1
	s_or_b64 exec, exec, s[30:31]
	v_and_b32_e32 v54, 0xffff0000, v55
	v_fma_f32 v55, v54, v61, v59
	v_and_b32_e32 v54, 0x7f800000, v55
	v_cmp_ne_u32_e64 s[0:1], s6, v54
                                        ; implicit-def: $vgpr54
	s_and_saveexec_b64 s[30:31], s[0:1]
	s_xor_b64 s[0:1], exec, s[30:31]
; %bb.184:                              ;   in Loop: Header=BB1_3 Depth=1
	v_bfe_u32 v54, v55, 16, 1
	v_add3_u32 v54, v55, v54, s35
                                        ; implicit-def: $vgpr55
; %bb.185:                              ;   in Loop: Header=BB1_3 Depth=1
	s_andn2_saveexec_b64 s[30:31], s[0:1]
; %bb.186:                              ;   in Loop: Header=BB1_3 Depth=1
	v_or_b32_e32 v54, 0x10000, v55
	v_cmp_eq_u32_sdwa s[0:1], v55, v35 src0_sel:WORD_0 src1_sel:DWORD
	v_cndmask_b32_e64 v54, v54, v55, s[0:1]
; %bb.187:                              ;   in Loop: Header=BB1_3 Depth=1
	s_or_b64 exec, exec, s[30:31]
	v_and_b32_e32 v55, 0xffff0000, v56
	v_fma_f32 v56, v55, v61, v59
	v_and_b32_e32 v55, 0x7f800000, v56
	v_cmp_ne_u32_e64 s[0:1], s6, v55
                                        ; implicit-def: $vgpr55
	s_and_saveexec_b64 s[30:31], s[0:1]
	s_xor_b64 s[0:1], exec, s[30:31]
; %bb.188:                              ;   in Loop: Header=BB1_3 Depth=1
	v_bfe_u32 v55, v56, 16, 1
	v_add3_u32 v55, v56, v55, s35
                                        ; implicit-def: $vgpr56
; %bb.189:                              ;   in Loop: Header=BB1_3 Depth=1
	s_andn2_saveexec_b64 s[30:31], s[0:1]
; %bb.190:                              ;   in Loop: Header=BB1_3 Depth=1
	v_or_b32_e32 v55, 0x10000, v56
	v_cmp_eq_u32_sdwa s[0:1], v56, v35 src0_sel:WORD_0 src1_sel:DWORD
	v_cndmask_b32_e64 v55, v55, v56, s[0:1]
; %bb.191:                              ;   in Loop: Header=BB1_3 Depth=1
	s_or_b64 exec, exec, s[30:31]
	v_and_b32_e32 v56, 0xffff0000, v57
	v_fma_f32 v57, v56, v61, v59
	v_and_b32_e32 v56, 0x7f800000, v57
	v_cmp_ne_u32_e64 s[0:1], s6, v56
                                        ; implicit-def: $vgpr56
	s_and_saveexec_b64 s[30:31], s[0:1]
	s_xor_b64 s[0:1], exec, s[30:31]
; %bb.192:                              ;   in Loop: Header=BB1_3 Depth=1
	v_bfe_u32 v56, v57, 16, 1
	v_add3_u32 v56, v57, v56, s35
                                        ; implicit-def: $vgpr57
; %bb.193:                              ;   in Loop: Header=BB1_3 Depth=1
	s_andn2_saveexec_b64 s[30:31], s[0:1]
; %bb.194:                              ;   in Loop: Header=BB1_3 Depth=1
	v_or_b32_e32 v56, 0x10000, v57
	v_cmp_eq_u32_sdwa s[0:1], v57, v35 src0_sel:WORD_0 src1_sel:DWORD
	v_cndmask_b32_e64 v56, v56, v57, s[0:1]
; %bb.195:                              ;   in Loop: Header=BB1_3 Depth=1
	s_or_b64 exec, exec, s[30:31]
	v_and_b32_e32 v57, 0xffff0000, v58
	v_fma_f32 v58, v57, v61, v59
	v_and_b32_e32 v57, 0x7f800000, v58
	v_cmp_ne_u32_e64 s[0:1], s6, v57
                                        ; implicit-def: $vgpr57
	s_and_saveexec_b64 s[30:31], s[0:1]
	s_xor_b64 s[0:1], exec, s[30:31]
; %bb.196:                              ;   in Loop: Header=BB1_3 Depth=1
	v_bfe_u32 v57, v58, 16, 1
	v_add3_u32 v57, v58, v57, s35
                                        ; implicit-def: $vgpr58
; %bb.197:                              ;   in Loop: Header=BB1_3 Depth=1
	s_andn2_saveexec_b64 s[30:31], s[0:1]
; %bb.198:                              ;   in Loop: Header=BB1_3 Depth=1
	v_or_b32_e32 v57, 0x10000, v58
	v_cmp_eq_u32_sdwa s[0:1], v58, v35 src0_sel:WORD_0 src1_sel:DWORD
	v_cndmask_b32_e64 v57, v57, v58, s[0:1]
; %bb.199:                              ;   in Loop: Header=BB1_3 Depth=1
	s_or_b64 exec, exec, s[30:31]
	v_and_b32_e32 v58, 0xffff0000, v60
	v_fmac_f32_e32 v59, v58, v61
	v_and_b32_e32 v58, 0x7f800000, v59
	v_cmp_ne_u32_e64 s[0:1], s6, v58
                                        ; implicit-def: $vgpr58
	s_and_saveexec_b64 s[30:31], s[0:1]
	s_xor_b64 s[0:1], exec, s[30:31]
; %bb.200:                              ;   in Loop: Header=BB1_3 Depth=1
	v_bfe_u32 v58, v59, 16, 1
	v_add3_u32 v58, v59, v58, s35
                                        ; implicit-def: $vgpr59
; %bb.201:                              ;   in Loop: Header=BB1_3 Depth=1
	s_andn2_saveexec_b64 s[30:31], s[0:1]
; %bb.202:                              ;   in Loop: Header=BB1_3 Depth=1
	v_or_b32_e32 v58, 0x10000, v59
	v_cmp_eq_u32_sdwa s[0:1], v59, v35 src0_sel:WORD_0 src1_sel:DWORD
	v_cndmask_b32_e64 v58, v58, v59, s[0:1]
; %bb.203:                              ;   in Loop: Header=BB1_3 Depth=1
	s_or_b64 exec, exec, s[30:31]
	v_lshrrev_b32_e32 v59, 4, v23
	;;#ASMSTART
	v_and_or_b32 v60, v23, v36, v37
	;;#ASMEND
	;;#ASMSTART
	v_and_or_b32 v61, v59, v36, v37
	;;#ASMEND
	v_lshrrev_b32_e32 v59, 8, v23
	v_lshrrev_b32_e32 v23, 12, v23
	;;#ASMSTART
	v_and_or_b32 v63, v59, v36, v37
	;;#ASMEND
	;;#ASMSTART
	v_and_or_b32 v65, v23, v36, v37
	;;#ASMEND
	v_lshlrev_b32_e32 v23, 16, v60
	v_add_f32_e32 v23, 0xc3080000, v23
	v_and_b32_e32 v59, 0x7f800000, v23
	v_cmp_ne_u32_e64 s[0:1], s6, v59
                                        ; implicit-def: $vgpr59
	s_and_saveexec_b64 s[30:31], s[0:1]
	s_xor_b64 s[0:1], exec, s[30:31]
; %bb.204:                              ;   in Loop: Header=BB1_3 Depth=1
	v_bfe_u32 v59, v23, 16, 1
	v_add3_u32 v59, v23, v59, s35
                                        ; implicit-def: $vgpr23
; %bb.205:                              ;   in Loop: Header=BB1_3 Depth=1
	s_andn2_saveexec_b64 s[30:31], s[0:1]
; %bb.206:                              ;   in Loop: Header=BB1_3 Depth=1
	v_or_b32_e32 v59, 0x10000, v23
	v_cmp_eq_u32_sdwa s[0:1], v23, v35 src0_sel:WORD_0 src1_sel:DWORD
	v_cndmask_b32_e64 v59, v59, v23, s[0:1]
; %bb.207:                              ;   in Loop: Header=BB1_3 Depth=1
	s_or_b64 exec, exec, s[30:31]
	v_and_b32_e32 v23, 0xffff0000, v60
	v_add_f32_e32 v60, 0xc3080000, v23
	v_and_b32_e32 v23, 0x7f800000, v60
	v_cmp_ne_u32_e64 s[0:1], s6, v23
                                        ; implicit-def: $vgpr23
	s_and_saveexec_b64 s[30:31], s[0:1]
	s_xor_b64 s[0:1], exec, s[30:31]
; %bb.208:                              ;   in Loop: Header=BB1_3 Depth=1
	v_bfe_u32 v23, v60, 16, 1
	v_add3_u32 v23, v60, v23, s35
                                        ; implicit-def: $vgpr60
; %bb.209:                              ;   in Loop: Header=BB1_3 Depth=1
	s_andn2_saveexec_b64 s[30:31], s[0:1]
; %bb.210:                              ;   in Loop: Header=BB1_3 Depth=1
	v_or_b32_e32 v23, 0x10000, v60
	v_cmp_eq_u32_sdwa s[0:1], v60, v35 src0_sel:WORD_0 src1_sel:DWORD
	v_cndmask_b32_e64 v23, v23, v60, s[0:1]
; %bb.211:                              ;   in Loop: Header=BB1_3 Depth=1
	s_or_b64 exec, exec, s[30:31]
	v_lshlrev_b32_e32 v60, 16, v61
	v_add_f32_e32 v62, 0xc3080000, v60
	v_and_b32_e32 v60, 0x7f800000, v62
	v_cmp_ne_u32_e64 s[0:1], s6, v60
                                        ; implicit-def: $vgpr60
	s_and_saveexec_b64 s[30:31], s[0:1]
	s_xor_b64 s[0:1], exec, s[30:31]
; %bb.212:                              ;   in Loop: Header=BB1_3 Depth=1
	v_bfe_u32 v60, v62, 16, 1
	v_add3_u32 v60, v62, v60, s35
                                        ; implicit-def: $vgpr62
; %bb.213:                              ;   in Loop: Header=BB1_3 Depth=1
	s_andn2_saveexec_b64 s[30:31], s[0:1]
; %bb.214:                              ;   in Loop: Header=BB1_3 Depth=1
	v_or_b32_e32 v60, 0x10000, v62
	v_cmp_eq_u32_sdwa s[0:1], v62, v35 src0_sel:WORD_0 src1_sel:DWORD
	v_cndmask_b32_e64 v60, v60, v62, s[0:1]
; %bb.215:                              ;   in Loop: Header=BB1_3 Depth=1
	s_or_b64 exec, exec, s[30:31]
	v_and_b32_e32 v61, 0xffff0000, v61
	v_add_f32_e32 v62, 0xc3080000, v61
	v_and_b32_e32 v61, 0x7f800000, v62
	v_cmp_ne_u32_e64 s[0:1], s6, v61
                                        ; implicit-def: $vgpr61
	s_and_saveexec_b64 s[30:31], s[0:1]
	s_xor_b64 s[0:1], exec, s[30:31]
; %bb.216:                              ;   in Loop: Header=BB1_3 Depth=1
	v_bfe_u32 v61, v62, 16, 1
	v_add3_u32 v61, v62, v61, s35
                                        ; implicit-def: $vgpr62
; %bb.217:                              ;   in Loop: Header=BB1_3 Depth=1
	s_andn2_saveexec_b64 s[30:31], s[0:1]
; %bb.218:                              ;   in Loop: Header=BB1_3 Depth=1
	v_or_b32_e32 v61, 0x10000, v62
	v_cmp_eq_u32_sdwa s[0:1], v62, v35 src0_sel:WORD_0 src1_sel:DWORD
	v_cndmask_b32_e64 v61, v61, v62, s[0:1]
; %bb.219:                              ;   in Loop: Header=BB1_3 Depth=1
	s_or_b64 exec, exec, s[30:31]
	v_lshlrev_b32_e32 v62, 16, v63
	v_add_f32_e32 v64, 0xc3080000, v62
	v_and_b32_e32 v62, 0x7f800000, v64
	v_cmp_ne_u32_e64 s[0:1], s6, v62
                                        ; implicit-def: $vgpr62
	s_and_saveexec_b64 s[30:31], s[0:1]
	s_xor_b64 s[0:1], exec, s[30:31]
; %bb.220:                              ;   in Loop: Header=BB1_3 Depth=1
	v_bfe_u32 v62, v64, 16, 1
	v_add3_u32 v62, v64, v62, s35
                                        ; implicit-def: $vgpr64
; %bb.221:                              ;   in Loop: Header=BB1_3 Depth=1
	s_andn2_saveexec_b64 s[30:31], s[0:1]
; %bb.222:                              ;   in Loop: Header=BB1_3 Depth=1
	v_or_b32_e32 v62, 0x10000, v64
	v_cmp_eq_u32_sdwa s[0:1], v64, v35 src0_sel:WORD_0 src1_sel:DWORD
	v_cndmask_b32_e64 v62, v62, v64, s[0:1]
; %bb.223:                              ;   in Loop: Header=BB1_3 Depth=1
	s_or_b64 exec, exec, s[30:31]
	v_and_b32_e32 v63, 0xffff0000, v63
	v_add_f32_e32 v64, 0xc3080000, v63
	v_and_b32_e32 v63, 0x7f800000, v64
	v_cmp_ne_u32_e64 s[0:1], s6, v63
                                        ; implicit-def: $vgpr63
	s_and_saveexec_b64 s[30:31], s[0:1]
	s_xor_b64 s[0:1], exec, s[30:31]
; %bb.224:                              ;   in Loop: Header=BB1_3 Depth=1
	v_bfe_u32 v63, v64, 16, 1
	v_add3_u32 v63, v64, v63, s35
                                        ; implicit-def: $vgpr64
; %bb.225:                              ;   in Loop: Header=BB1_3 Depth=1
	s_andn2_saveexec_b64 s[30:31], s[0:1]
; %bb.226:                              ;   in Loop: Header=BB1_3 Depth=1
	v_or_b32_e32 v63, 0x10000, v64
	v_cmp_eq_u32_sdwa s[0:1], v64, v35 src0_sel:WORD_0 src1_sel:DWORD
	v_cndmask_b32_e64 v63, v63, v64, s[0:1]
; %bb.227:                              ;   in Loop: Header=BB1_3 Depth=1
	s_or_b64 exec, exec, s[30:31]
	v_lshlrev_b32_e32 v64, 16, v65
	v_add_f32_e32 v66, 0xc3080000, v64
	v_and_b32_e32 v64, 0x7f800000, v66
	v_cmp_ne_u32_e64 s[0:1], s6, v64
                                        ; implicit-def: $vgpr64
	s_and_saveexec_b64 s[30:31], s[0:1]
	s_xor_b64 s[0:1], exec, s[30:31]
; %bb.228:                              ;   in Loop: Header=BB1_3 Depth=1
	v_bfe_u32 v64, v66, 16, 1
	v_add3_u32 v64, v66, v64, s35
                                        ; implicit-def: $vgpr66
; %bb.229:                              ;   in Loop: Header=BB1_3 Depth=1
	s_andn2_saveexec_b64 s[30:31], s[0:1]
; %bb.230:                              ;   in Loop: Header=BB1_3 Depth=1
	v_or_b32_e32 v64, 0x10000, v66
	v_cmp_eq_u32_sdwa s[0:1], v66, v35 src0_sel:WORD_0 src1_sel:DWORD
	v_cndmask_b32_e64 v64, v64, v66, s[0:1]
; %bb.231:                              ;   in Loop: Header=BB1_3 Depth=1
	s_or_b64 exec, exec, s[30:31]
	v_and_b32_e32 v65, 0xffff0000, v65
	v_add_f32_e32 v66, 0xc3080000, v65
	v_and_b32_e32 v65, 0x7f800000, v66
	v_cmp_ne_u32_e64 s[0:1], s6, v65
                                        ; implicit-def: $vgpr65
	s_and_saveexec_b64 s[30:31], s[0:1]
	s_xor_b64 s[0:1], exec, s[30:31]
; %bb.232:                              ;   in Loop: Header=BB1_3 Depth=1
	v_bfe_u32 v65, v66, 16, 1
	v_add3_u32 v65, v66, v65, s35
                                        ; implicit-def: $vgpr66
; %bb.233:                              ;   in Loop: Header=BB1_3 Depth=1
	s_andn2_saveexec_b64 s[30:31], s[0:1]
; %bb.234:                              ;   in Loop: Header=BB1_3 Depth=1
	v_or_b32_e32 v65, 0x10000, v66
	v_cmp_eq_u32_sdwa s[0:1], v66, v35 src0_sel:WORD_0 src1_sel:DWORD
	v_cndmask_b32_e64 v65, v65, v66, s[0:1]
; %bb.235:                              ;   in Loop: Header=BB1_3 Depth=1
	s_or_b64 exec, exec, s[30:31]
	v_and_b32_e32 v67, 0xffff0000, v59
	s_waitcnt vmcnt(0)
	v_lshlrev_b32_e32 v66, 16, v5
	v_and_b32_e32 v59, 0xffff0000, v5
	v_fma_f32 v67, v67, v66, v59
	v_and_b32_e32 v5, 0x7f800000, v67
	v_cmp_ne_u32_e64 s[0:1], s6, v5
                                        ; implicit-def: $vgpr5
	s_and_saveexec_b64 s[30:31], s[0:1]
	s_xor_b64 s[0:1], exec, s[30:31]
; %bb.236:                              ;   in Loop: Header=BB1_3 Depth=1
	v_bfe_u32 v5, v67, 16, 1
	v_add3_u32 v5, v67, v5, s35
                                        ; implicit-def: $vgpr67
; %bb.237:                              ;   in Loop: Header=BB1_3 Depth=1
	s_andn2_saveexec_b64 s[30:31], s[0:1]
; %bb.238:                              ;   in Loop: Header=BB1_3 Depth=1
	v_or_b32_e32 v5, 0x10000, v67
	v_cmp_eq_u32_sdwa s[0:1], v67, v35 src0_sel:WORD_0 src1_sel:DWORD
	v_cndmask_b32_e64 v5, v5, v67, s[0:1]
; %bb.239:                              ;   in Loop: Header=BB1_3 Depth=1
	s_or_b64 exec, exec, s[30:31]
	v_and_b32_e32 v23, 0xffff0000, v23
	v_fma_f32 v67, v23, v66, v59
	v_and_b32_e32 v23, 0x7f800000, v67
	v_cmp_ne_u32_e64 s[0:1], s6, v23
                                        ; implicit-def: $vgpr23
	s_and_saveexec_b64 s[30:31], s[0:1]
	s_xor_b64 s[0:1], exec, s[30:31]
; %bb.240:                              ;   in Loop: Header=BB1_3 Depth=1
	v_bfe_u32 v23, v67, 16, 1
	v_add3_u32 v23, v67, v23, s35
                                        ; implicit-def: $vgpr67
; %bb.241:                              ;   in Loop: Header=BB1_3 Depth=1
	s_andn2_saveexec_b64 s[30:31], s[0:1]
; %bb.242:                              ;   in Loop: Header=BB1_3 Depth=1
	v_or_b32_e32 v23, 0x10000, v67
	v_cmp_eq_u32_sdwa s[0:1], v67, v35 src0_sel:WORD_0 src1_sel:DWORD
	v_cndmask_b32_e64 v23, v23, v67, s[0:1]
; %bb.243:                              ;   in Loop: Header=BB1_3 Depth=1
	s_or_b64 exec, exec, s[30:31]
	v_and_b32_e32 v60, 0xffff0000, v60
	v_fma_f32 v67, v60, v66, v59
	v_and_b32_e32 v60, 0x7f800000, v67
	v_cmp_ne_u32_e64 s[0:1], s6, v60
                                        ; implicit-def: $vgpr60
	s_and_saveexec_b64 s[30:31], s[0:1]
	s_xor_b64 s[0:1], exec, s[30:31]
; %bb.244:                              ;   in Loop: Header=BB1_3 Depth=1
	v_bfe_u32 v60, v67, 16, 1
	v_add3_u32 v60, v67, v60, s35
                                        ; implicit-def: $vgpr67
; %bb.245:                              ;   in Loop: Header=BB1_3 Depth=1
	s_andn2_saveexec_b64 s[30:31], s[0:1]
; %bb.246:                              ;   in Loop: Header=BB1_3 Depth=1
	v_or_b32_e32 v60, 0x10000, v67
	v_cmp_eq_u32_sdwa s[0:1], v67, v35 src0_sel:WORD_0 src1_sel:DWORD
	v_cndmask_b32_e64 v60, v60, v67, s[0:1]
; %bb.247:                              ;   in Loop: Header=BB1_3 Depth=1
	s_or_b64 exec, exec, s[30:31]
	v_and_b32_e32 v61, 0xffff0000, v61
	v_fma_f32 v67, v61, v66, v59
	v_and_b32_e32 v61, 0x7f800000, v67
	v_cmp_ne_u32_e64 s[0:1], s6, v61
                                        ; implicit-def: $vgpr61
	s_and_saveexec_b64 s[30:31], s[0:1]
	s_xor_b64 s[0:1], exec, s[30:31]
; %bb.248:                              ;   in Loop: Header=BB1_3 Depth=1
	v_bfe_u32 v61, v67, 16, 1
	v_add3_u32 v61, v67, v61, s35
                                        ; implicit-def: $vgpr67
; %bb.249:                              ;   in Loop: Header=BB1_3 Depth=1
	s_andn2_saveexec_b64 s[30:31], s[0:1]
; %bb.250:                              ;   in Loop: Header=BB1_3 Depth=1
	v_or_b32_e32 v61, 0x10000, v67
	v_cmp_eq_u32_sdwa s[0:1], v67, v35 src0_sel:WORD_0 src1_sel:DWORD
	v_cndmask_b32_e64 v61, v61, v67, s[0:1]
; %bb.251:                              ;   in Loop: Header=BB1_3 Depth=1
	s_or_b64 exec, exec, s[30:31]
	v_and_b32_e32 v62, 0xffff0000, v62
	v_fma_f32 v67, v62, v66, v59
	v_and_b32_e32 v62, 0x7f800000, v67
	v_cmp_ne_u32_e64 s[0:1], s6, v62
                                        ; implicit-def: $vgpr62
	s_and_saveexec_b64 s[30:31], s[0:1]
	s_xor_b64 s[0:1], exec, s[30:31]
; %bb.252:                              ;   in Loop: Header=BB1_3 Depth=1
	v_bfe_u32 v62, v67, 16, 1
	v_add3_u32 v62, v67, v62, s35
                                        ; implicit-def: $vgpr67
; %bb.253:                              ;   in Loop: Header=BB1_3 Depth=1
	s_andn2_saveexec_b64 s[30:31], s[0:1]
; %bb.254:                              ;   in Loop: Header=BB1_3 Depth=1
	v_or_b32_e32 v62, 0x10000, v67
	v_cmp_eq_u32_sdwa s[0:1], v67, v35 src0_sel:WORD_0 src1_sel:DWORD
	v_cndmask_b32_e64 v62, v62, v67, s[0:1]
; %bb.255:                              ;   in Loop: Header=BB1_3 Depth=1
	s_or_b64 exec, exec, s[30:31]
	v_and_b32_e32 v63, 0xffff0000, v63
	v_fma_f32 v67, v63, v66, v59
	v_and_b32_e32 v63, 0x7f800000, v67
	v_cmp_ne_u32_e64 s[0:1], s6, v63
                                        ; implicit-def: $vgpr63
	s_and_saveexec_b64 s[30:31], s[0:1]
	s_xor_b64 s[0:1], exec, s[30:31]
; %bb.256:                              ;   in Loop: Header=BB1_3 Depth=1
	v_bfe_u32 v63, v67, 16, 1
	v_add3_u32 v63, v67, v63, s35
                                        ; implicit-def: $vgpr67
; %bb.257:                              ;   in Loop: Header=BB1_3 Depth=1
	s_andn2_saveexec_b64 s[30:31], s[0:1]
; %bb.258:                              ;   in Loop: Header=BB1_3 Depth=1
	v_or_b32_e32 v63, 0x10000, v67
	v_cmp_eq_u32_sdwa s[0:1], v67, v35 src0_sel:WORD_0 src1_sel:DWORD
	v_cndmask_b32_e64 v63, v63, v67, s[0:1]
; %bb.259:                              ;   in Loop: Header=BB1_3 Depth=1
	s_or_b64 exec, exec, s[30:31]
	v_and_b32_e32 v64, 0xffff0000, v64
	v_fma_f32 v67, v64, v66, v59
	v_and_b32_e32 v64, 0x7f800000, v67
	v_cmp_ne_u32_e64 s[0:1], s6, v64
                                        ; implicit-def: $vgpr64
	s_and_saveexec_b64 s[30:31], s[0:1]
	s_xor_b64 s[0:1], exec, s[30:31]
; %bb.260:                              ;   in Loop: Header=BB1_3 Depth=1
	v_bfe_u32 v64, v67, 16, 1
	v_add3_u32 v64, v67, v64, s35
                                        ; implicit-def: $vgpr67
; %bb.261:                              ;   in Loop: Header=BB1_3 Depth=1
	s_andn2_saveexec_b64 s[30:31], s[0:1]
; %bb.262:                              ;   in Loop: Header=BB1_3 Depth=1
	v_or_b32_e32 v64, 0x10000, v67
	v_cmp_eq_u32_sdwa s[0:1], v67, v35 src0_sel:WORD_0 src1_sel:DWORD
	v_cndmask_b32_e64 v64, v64, v67, s[0:1]
; %bb.263:                              ;   in Loop: Header=BB1_3 Depth=1
	s_or_b64 exec, exec, s[30:31]
	v_and_b32_e32 v65, 0xffff0000, v65
	v_fmac_f32_e32 v59, v65, v66
	v_and_b32_e32 v65, 0x7f800000, v59
	v_cmp_ne_u32_e64 s[0:1], s6, v65
                                        ; implicit-def: $vgpr65
	s_and_saveexec_b64 s[30:31], s[0:1]
	s_xor_b64 s[0:1], exec, s[30:31]
; %bb.264:                              ;   in Loop: Header=BB1_3 Depth=1
	v_bfe_u32 v65, v59, 16, 1
	v_add3_u32 v65, v59, v65, s35
                                        ; implicit-def: $vgpr59
; %bb.265:                              ;   in Loop: Header=BB1_3 Depth=1
	s_andn2_saveexec_b64 s[30:31], s[0:1]
	s_cbranch_execz .LBB1_2
; %bb.266:                              ;   in Loop: Header=BB1_3 Depth=1
	v_or_b32_e32 v65, 0x10000, v59
	v_cmp_eq_u32_sdwa s[0:1], v59, v35 src0_sel:WORD_0 src1_sel:DWORD
	v_cndmask_b32_e64 v65, v65, v59, s[0:1]
	s_branch .LBB1_2
.LBB1_267:
	s_or_b64 exec, exec, s[10:11]
.LBB1_268:
	s_or_b64 exec, exec, s[4:5]
	v_lshl_add_u32 v14, v28, 2, s19
	v_cmp_gt_u32_e32 vcc, s3, v14
	s_and_saveexec_b64 s[0:1], vcc
	s_cbranch_execz .LBB1_402
; %bb.269:
	v_lshl_or_b32 v8, s8, 4, v29
	v_mul_lo_u32 v6, v8, s18
	v_ashrrev_i32_e32 v7, 31, v6
	v_and_b32_e32 v4, 0xfc, v27
	v_lshlrev_b64 v[6:7], 1, v[6:7]
	v_lshl_add_u32 v4, v14, 4, v4
	v_mov_b32_e32 v5, s21
	v_add_co_u32_e32 v6, vcc, s20, v6
	v_addc_co_u32_e32 v7, vcc, v5, v7, vcc
	v_ashrrev_i32_e32 v5, 31, v4
	v_lshlrev_b64 v[4:5], 1, v[4:5]
	v_add_co_u32_e32 v12, vcc, v6, v4
	v_addc_co_u32_e32 v13, vcc, v7, v5, vcc
	v_cmp_gt_i32_e32 vcc, s16, v8
	v_mov_b32_e32 v4, 0
	v_mov_b32_e32 v10, 0
	;; [unrolled: 1-line block ×5, first 2 shown]
	s_and_saveexec_b64 s[4:5], vcc
	s_cbranch_execz .LBB1_271
; %bb.270:
	global_load_dwordx2 v[10:11], v[12:13], off
	global_load_dwordx2 v[8:9], v[12:13], off offset:32
.LBB1_271:
	s_or_b64 exec, exec, s[4:5]
	v_mov_b32_e32 v5, 0
	v_mov_b32_e32 v6, 0
	;; [unrolled: 1-line block ×3, first 2 shown]
	s_and_saveexec_b64 s[4:5], vcc
	s_cbranch_execz .LBB1_273
; %bb.272:
	global_load_dwordx2 v[4:5], v[12:13], off offset:64
	global_load_dwordx2 v[6:7], v[12:13], off offset:96
.LBB1_273:
	s_or_b64 exec, exec, s[4:5]
	s_lshr_b32 s4, s9, 30
	s_add_i32 s3, s3, s4
	s_lshr_b32 s3, s3, 2
	s_mul_i32 s3, s3, s7
	v_lshrrev_b32_e32 v12, 2, v14
	v_add_u32_e32 v12, s3, v12
	v_lshl_add_u32 v12, v12, 7, v30
	v_ashrrev_i32_e32 v13, 31, v12
	v_lshlrev_b64 v[12:13], 2, v[12:13]
	v_lshrrev_b32_e32 v14, 1, v14
	v_mov_b32_e32 v15, s23
	v_add_co_u32_e32 v12, vcc, s22, v12
	v_mul_lo_u32 v14, s2, v14
	v_addc_co_u32_e32 v13, vcc, v15, v13, vcc
	v_lshl_or_b32 v15, s7, 4, v29
	v_lshlrev_b32_e32 v14, 4, v14
	v_add_lshl_u32 v14, v15, v14, 1
	global_load_dwordx2 v[12:13], v[12:13], off
	v_ashrrev_i32_e32 v15, 31, v14
	v_lshlrev_b64 v[14:15], 1, v[14:15]
	s_lshl_b32 s2, s2, 5
	v_mov_b32_e32 v17, s13
	v_add_co_u32_e32 v16, vcc, s12, v14
	s_ashr_i32 s3, s2, 31
	v_addc_co_u32_e32 v17, vcc, v17, v15, vcc
	s_lshl_b64 s[2:3], s[2:3], 1
	v_mov_b32_e32 v14, s3
	v_add_co_u32_e32 v18, vcc, s2, v16
	v_addc_co_u32_e32 v19, vcc, v17, v14, vcc
	global_load_dword v15, v[16:17], off
	global_load_dword v14, v[18:19], off
	v_mov_b32_e32 v17, 0xf000f
	v_mov_b32_e32 v19, 0x43004300
	s_waitcnt vmcnt(2)
	;;#ASMSTART
	v_and_or_b32 v16, v12, v17, v19
	;;#ASMEND
	s_mov_b32 s2, 0x7f800000
	v_lshrrev_b32_e32 v18, 4, v12
	v_lshrrev_b32_e32 v20, 8, v12
	;; [unrolled: 1-line block ×3, first 2 shown]
	;;#ASMSTART
	v_and_or_b32 v18, v18, v17, v19
	;;#ASMEND
	;;#ASMSTART
	v_and_or_b32 v20, v20, v17, v19
	;;#ASMEND
	;; [unrolled: 3-line block ×3, first 2 shown]
	v_lshlrev_b32_e32 v12, 16, v16
	v_add_f32_e32 v17, 0xc3080000, v12
	v_and_b32_e32 v12, 0x7f800000, v17
	v_cmp_ne_u32_e32 vcc, s2, v12
                                        ; implicit-def: $vgpr12
	s_and_saveexec_b64 s[2:3], vcc
	s_xor_b64 s[2:3], exec, s[2:3]
; %bb.274:
	v_bfe_u32 v12, v17, 16, 1
	s_movk_i32 s4, 0x7fff
	v_add3_u32 v12, v17, v12, s4
                                        ; implicit-def: $vgpr17
; %bb.275:
	s_andn2_saveexec_b64 s[2:3], s[2:3]
; %bb.276:
	v_mov_b32_e32 v12, 0
	v_or_b32_e32 v19, 0x10000, v17
	v_cmp_eq_u32_sdwa vcc, v17, v12 src0_sel:WORD_0 src1_sel:DWORD
	v_cndmask_b32_e32 v12, v19, v17, vcc
; %bb.277:
	s_or_b64 exec, exec, s[2:3]
	v_and_b32_e32 v16, 0xffff0000, v16
	v_add_f32_e32 v17, 0xc3080000, v16
	s_mov_b32 s2, 0x7f800000
	v_and_b32_e32 v16, 0x7f800000, v17
	v_cmp_ne_u32_e32 vcc, s2, v16
                                        ; implicit-def: $vgpr16
	s_and_saveexec_b64 s[2:3], vcc
	s_xor_b64 s[2:3], exec, s[2:3]
; %bb.278:
	v_bfe_u32 v16, v17, 16, 1
	s_movk_i32 s4, 0x7fff
	v_add3_u32 v16, v17, v16, s4
                                        ; implicit-def: $vgpr17
; %bb.279:
	s_andn2_saveexec_b64 s[2:3], s[2:3]
; %bb.280:
	v_mov_b32_e32 v16, 0
	v_or_b32_e32 v19, 0x10000, v17
	v_cmp_eq_u32_sdwa vcc, v17, v16 src0_sel:WORD_0 src1_sel:DWORD
	v_cndmask_b32_e32 v16, v19, v17, vcc
; %bb.281:
	s_or_b64 exec, exec, s[2:3]
	v_lshlrev_b32_e32 v17, 16, v18
	v_add_f32_e32 v19, 0xc3080000, v17
	s_mov_b32 s2, 0x7f800000
	v_and_b32_e32 v17, 0x7f800000, v19
	v_cmp_ne_u32_e32 vcc, s2, v17
                                        ; implicit-def: $vgpr17
	s_and_saveexec_b64 s[2:3], vcc
	s_xor_b64 s[2:3], exec, s[2:3]
; %bb.282:
	v_bfe_u32 v17, v19, 16, 1
	s_movk_i32 s4, 0x7fff
	v_add3_u32 v17, v19, v17, s4
                                        ; implicit-def: $vgpr19
; %bb.283:
	s_andn2_saveexec_b64 s[2:3], s[2:3]
; %bb.284:
	v_mov_b32_e32 v17, 0
	v_or_b32_e32 v21, 0x10000, v19
	v_cmp_eq_u32_sdwa vcc, v19, v17 src0_sel:WORD_0 src1_sel:DWORD
	v_cndmask_b32_e32 v17, v21, v19, vcc
; %bb.285:
	s_or_b64 exec, exec, s[2:3]
	v_and_b32_e32 v18, 0xffff0000, v18
	v_add_f32_e32 v19, 0xc3080000, v18
	s_mov_b32 s2, 0x7f800000
	v_and_b32_e32 v18, 0x7f800000, v19
	v_cmp_ne_u32_e32 vcc, s2, v18
                                        ; implicit-def: $vgpr18
	s_and_saveexec_b64 s[2:3], vcc
	s_xor_b64 s[2:3], exec, s[2:3]
; %bb.286:
	v_bfe_u32 v18, v19, 16, 1
	s_movk_i32 s4, 0x7fff
	v_add3_u32 v18, v19, v18, s4
                                        ; implicit-def: $vgpr19
; %bb.287:
	s_andn2_saveexec_b64 s[2:3], s[2:3]
; %bb.288:
	v_mov_b32_e32 v18, 0
	v_or_b32_e32 v21, 0x10000, v19
	v_cmp_eq_u32_sdwa vcc, v19, v18 src0_sel:WORD_0 src1_sel:DWORD
	v_cndmask_b32_e32 v18, v21, v19, vcc
; %bb.289:
	s_or_b64 exec, exec, s[2:3]
	v_lshlrev_b32_e32 v19, 16, v20
	v_add_f32_e32 v21, 0xc3080000, v19
	s_mov_b32 s2, 0x7f800000
	v_and_b32_e32 v19, 0x7f800000, v21
	v_cmp_ne_u32_e32 vcc, s2, v19
                                        ; implicit-def: $vgpr19
	s_and_saveexec_b64 s[2:3], vcc
	s_xor_b64 s[2:3], exec, s[2:3]
; %bb.290:
	v_bfe_u32 v19, v21, 16, 1
	s_movk_i32 s4, 0x7fff
	v_add3_u32 v19, v21, v19, s4
                                        ; implicit-def: $vgpr21
; %bb.291:
	s_andn2_saveexec_b64 s[2:3], s[2:3]
; %bb.292:
	v_mov_b32_e32 v19, 0
	v_or_b32_e32 v23, 0x10000, v21
	v_cmp_eq_u32_sdwa vcc, v21, v19 src0_sel:WORD_0 src1_sel:DWORD
	v_cndmask_b32_e32 v19, v23, v21, vcc
; %bb.293:
	s_or_b64 exec, exec, s[2:3]
	v_and_b32_e32 v20, 0xffff0000, v20
	v_add_f32_e32 v21, 0xc3080000, v20
	s_mov_b32 s2, 0x7f800000
	v_and_b32_e32 v20, 0x7f800000, v21
	v_cmp_ne_u32_e32 vcc, s2, v20
                                        ; implicit-def: $vgpr20
	s_and_saveexec_b64 s[2:3], vcc
	s_xor_b64 s[2:3], exec, s[2:3]
; %bb.294:
	v_bfe_u32 v20, v21, 16, 1
	s_movk_i32 s4, 0x7fff
	v_add3_u32 v20, v21, v20, s4
                                        ; implicit-def: $vgpr21
; %bb.295:
	s_andn2_saveexec_b64 s[2:3], s[2:3]
; %bb.296:
	v_mov_b32_e32 v20, 0
	v_or_b32_e32 v23, 0x10000, v21
	v_cmp_eq_u32_sdwa vcc, v21, v20 src0_sel:WORD_0 src1_sel:DWORD
	v_cndmask_b32_e32 v20, v23, v21, vcc
; %bb.297:
	s_or_b64 exec, exec, s[2:3]
	v_lshlrev_b32_e32 v21, 16, v22
	v_add_f32_e32 v23, 0xc3080000, v21
	s_mov_b32 s2, 0x7f800000
	v_and_b32_e32 v21, 0x7f800000, v23
	v_cmp_ne_u32_e32 vcc, s2, v21
                                        ; implicit-def: $vgpr21
	s_and_saveexec_b64 s[2:3], vcc
	s_xor_b64 s[2:3], exec, s[2:3]
; %bb.298:
	v_bfe_u32 v21, v23, 16, 1
	s_movk_i32 s4, 0x7fff
	v_add3_u32 v21, v23, v21, s4
                                        ; implicit-def: $vgpr23
; %bb.299:
	s_andn2_saveexec_b64 s[2:3], s[2:3]
; %bb.300:
	v_mov_b32_e32 v21, 0
	v_or_b32_e32 v24, 0x10000, v23
	v_cmp_eq_u32_sdwa vcc, v23, v21 src0_sel:WORD_0 src1_sel:DWORD
	v_cndmask_b32_e32 v21, v24, v23, vcc
; %bb.301:
	s_or_b64 exec, exec, s[2:3]
	v_and_b32_e32 v22, 0xffff0000, v22
	v_add_f32_e32 v22, 0xc3080000, v22
	s_mov_b32 s2, 0x7f800000
	v_and_b32_e32 v23, 0x7f800000, v22
	v_cmp_ne_u32_e32 vcc, s2, v23
                                        ; implicit-def: $vgpr23
	s_and_saveexec_b64 s[2:3], vcc
	s_xor_b64 s[2:3], exec, s[2:3]
; %bb.302:
	v_bfe_u32 v23, v22, 16, 1
	s_movk_i32 s4, 0x7fff
	v_add3_u32 v23, v22, v23, s4
                                        ; implicit-def: $vgpr22
; %bb.303:
	s_andn2_saveexec_b64 s[2:3], s[2:3]
; %bb.304:
	v_mov_b32_e32 v23, 0
	v_or_b32_e32 v24, 0x10000, v22
	v_cmp_eq_u32_sdwa vcc, v22, v23 src0_sel:WORD_0 src1_sel:DWORD
	v_cndmask_b32_e32 v23, v24, v22, vcc
; %bb.305:
	s_or_b64 exec, exec, s[2:3]
	v_and_b32_e32 v12, 0xffff0000, v12
	s_waitcnt vmcnt(1)
	v_lshlrev_b32_e32 v24, 16, v15
	v_and_b32_e32 v22, 0xffff0000, v15
	v_fma_f32 v15, v12, v24, v22
	s_mov_b32 s2, 0x7f800000
	v_and_b32_e32 v12, 0x7f800000, v15
	v_cmp_ne_u32_e32 vcc, s2, v12
                                        ; implicit-def: $vgpr12
	s_and_saveexec_b64 s[2:3], vcc
	s_xor_b64 s[2:3], exec, s[2:3]
; %bb.306:
	v_bfe_u32 v12, v15, 16, 1
	s_movk_i32 s4, 0x7fff
	v_add3_u32 v12, v15, v12, s4
                                        ; implicit-def: $vgpr15
; %bb.307:
	s_andn2_saveexec_b64 s[2:3], s[2:3]
; %bb.308:
	v_mov_b32_e32 v12, 0
	v_or_b32_e32 v25, 0x10000, v15
	v_cmp_eq_u32_sdwa vcc, v15, v12 src0_sel:WORD_0 src1_sel:DWORD
	v_cndmask_b32_e32 v12, v25, v15, vcc
; %bb.309:
	s_or_b64 exec, exec, s[2:3]
	v_and_b32_e32 v15, 0xffff0000, v16
	v_fma_f32 v16, v15, v24, v22
	s_mov_b32 s2, 0x7f800000
	v_and_b32_e32 v15, 0x7f800000, v16
	v_cmp_ne_u32_e32 vcc, s2, v15
                                        ; implicit-def: $vgpr15
	s_and_saveexec_b64 s[2:3], vcc
	s_xor_b64 s[2:3], exec, s[2:3]
; %bb.310:
	v_bfe_u32 v15, v16, 16, 1
	s_movk_i32 s4, 0x7fff
	v_add3_u32 v15, v16, v15, s4
                                        ; implicit-def: $vgpr16
; %bb.311:
	s_andn2_saveexec_b64 s[2:3], s[2:3]
; %bb.312:
	v_mov_b32_e32 v15, 0
	v_or_b32_e32 v25, 0x10000, v16
	v_cmp_eq_u32_sdwa vcc, v16, v15 src0_sel:WORD_0 src1_sel:DWORD
	v_cndmask_b32_e32 v15, v25, v16, vcc
; %bb.313:
	s_or_b64 exec, exec, s[2:3]
	v_and_b32_e32 v16, 0xffff0000, v17
	v_fma_f32 v17, v16, v24, v22
	s_mov_b32 s2, 0x7f800000
	v_and_b32_e32 v16, 0x7f800000, v17
	v_cmp_ne_u32_e32 vcc, s2, v16
                                        ; implicit-def: $vgpr16
	s_and_saveexec_b64 s[2:3], vcc
	s_xor_b64 s[2:3], exec, s[2:3]
; %bb.314:
	v_bfe_u32 v16, v17, 16, 1
	s_movk_i32 s4, 0x7fff
	v_add3_u32 v16, v17, v16, s4
                                        ; implicit-def: $vgpr17
; %bb.315:
	s_andn2_saveexec_b64 s[2:3], s[2:3]
; %bb.316:
	v_mov_b32_e32 v16, 0
	v_or_b32_e32 v25, 0x10000, v17
	v_cmp_eq_u32_sdwa vcc, v17, v16 src0_sel:WORD_0 src1_sel:DWORD
	v_cndmask_b32_e32 v16, v25, v17, vcc
; %bb.317:
	s_or_b64 exec, exec, s[2:3]
	v_and_b32_e32 v17, 0xffff0000, v18
	v_fma_f32 v18, v17, v24, v22
	s_mov_b32 s2, 0x7f800000
	v_and_b32_e32 v17, 0x7f800000, v18
	v_cmp_ne_u32_e32 vcc, s2, v17
                                        ; implicit-def: $vgpr17
	s_and_saveexec_b64 s[2:3], vcc
	s_xor_b64 s[2:3], exec, s[2:3]
; %bb.318:
	v_bfe_u32 v17, v18, 16, 1
	s_movk_i32 s4, 0x7fff
	v_add3_u32 v17, v18, v17, s4
                                        ; implicit-def: $vgpr18
; %bb.319:
	s_andn2_saveexec_b64 s[2:3], s[2:3]
; %bb.320:
	v_mov_b32_e32 v17, 0
	v_or_b32_e32 v25, 0x10000, v18
	v_cmp_eq_u32_sdwa vcc, v18, v17 src0_sel:WORD_0 src1_sel:DWORD
	v_cndmask_b32_e32 v17, v25, v18, vcc
; %bb.321:
	s_or_b64 exec, exec, s[2:3]
	v_and_b32_e32 v18, 0xffff0000, v19
	v_fma_f32 v19, v18, v24, v22
	s_mov_b32 s2, 0x7f800000
	v_and_b32_e32 v18, 0x7f800000, v19
	v_cmp_ne_u32_e32 vcc, s2, v18
                                        ; implicit-def: $vgpr18
	s_and_saveexec_b64 s[2:3], vcc
	s_xor_b64 s[2:3], exec, s[2:3]
; %bb.322:
	v_bfe_u32 v18, v19, 16, 1
	s_movk_i32 s4, 0x7fff
	v_add3_u32 v18, v19, v18, s4
                                        ; implicit-def: $vgpr19
; %bb.323:
	s_andn2_saveexec_b64 s[2:3], s[2:3]
; %bb.324:
	v_mov_b32_e32 v18, 0
	v_or_b32_e32 v25, 0x10000, v19
	v_cmp_eq_u32_sdwa vcc, v19, v18 src0_sel:WORD_0 src1_sel:DWORD
	v_cndmask_b32_e32 v18, v25, v19, vcc
; %bb.325:
	s_or_b64 exec, exec, s[2:3]
	v_and_b32_e32 v19, 0xffff0000, v20
	v_fma_f32 v20, v19, v24, v22
	s_mov_b32 s2, 0x7f800000
	v_and_b32_e32 v19, 0x7f800000, v20
	v_cmp_ne_u32_e32 vcc, s2, v19
                                        ; implicit-def: $vgpr19
	s_and_saveexec_b64 s[2:3], vcc
	s_xor_b64 s[2:3], exec, s[2:3]
; %bb.326:
	v_bfe_u32 v19, v20, 16, 1
	s_movk_i32 s4, 0x7fff
	v_add3_u32 v19, v20, v19, s4
                                        ; implicit-def: $vgpr20
; %bb.327:
	s_andn2_saveexec_b64 s[2:3], s[2:3]
; %bb.328:
	v_mov_b32_e32 v19, 0
	v_or_b32_e32 v25, 0x10000, v20
	v_cmp_eq_u32_sdwa vcc, v20, v19 src0_sel:WORD_0 src1_sel:DWORD
	v_cndmask_b32_e32 v19, v25, v20, vcc
; %bb.329:
	s_or_b64 exec, exec, s[2:3]
	v_and_b32_e32 v20, 0xffff0000, v21
	v_fma_f32 v21, v20, v24, v22
	s_mov_b32 s2, 0x7f800000
	v_and_b32_e32 v20, 0x7f800000, v21
	v_cmp_ne_u32_e32 vcc, s2, v20
                                        ; implicit-def: $vgpr20
	s_and_saveexec_b64 s[2:3], vcc
	s_xor_b64 s[2:3], exec, s[2:3]
; %bb.330:
	v_bfe_u32 v20, v21, 16, 1
	s_movk_i32 s4, 0x7fff
	v_add3_u32 v20, v21, v20, s4
                                        ; implicit-def: $vgpr21
; %bb.331:
	s_andn2_saveexec_b64 s[2:3], s[2:3]
; %bb.332:
	v_mov_b32_e32 v20, 0
	v_or_b32_e32 v25, 0x10000, v21
	v_cmp_eq_u32_sdwa vcc, v21, v20 src0_sel:WORD_0 src1_sel:DWORD
	v_cndmask_b32_e32 v20, v25, v21, vcc
; %bb.333:
	s_or_b64 exec, exec, s[2:3]
	v_and_b32_e32 v21, 0xffff0000, v23
	v_fmac_f32_e32 v22, v21, v24
	s_mov_b32 s2, 0x7f800000
	v_and_b32_e32 v21, 0x7f800000, v22
	v_cmp_ne_u32_e32 vcc, s2, v21
                                        ; implicit-def: $vgpr21
	s_and_saveexec_b64 s[2:3], vcc
	s_xor_b64 s[2:3], exec, s[2:3]
; %bb.334:
	v_bfe_u32 v21, v22, 16, 1
	s_movk_i32 s4, 0x7fff
	v_add3_u32 v21, v22, v21, s4
                                        ; implicit-def: $vgpr22
; %bb.335:
	s_andn2_saveexec_b64 s[2:3], s[2:3]
; %bb.336:
	v_mov_b32_e32 v21, 0
	v_or_b32_e32 v23, 0x10000, v22
	v_cmp_eq_u32_sdwa vcc, v22, v21 src0_sel:WORD_0 src1_sel:DWORD
	v_cndmask_b32_e32 v21, v23, v22, vcc
; %bb.337:
	s_or_b64 exec, exec, s[2:3]
	v_mov_b32_e32 v23, 0xf000f
	v_mov_b32_e32 v25, 0x43004300
	;;#ASMSTART
	v_and_or_b32 v22, v13, v23, v25
	;;#ASMEND
	v_lshrrev_b32_e32 v24, 4, v13
	v_lshrrev_b32_e32 v29, 8, v13
	;; [unrolled: 1-line block ×3, first 2 shown]
	;;#ASMSTART
	v_and_or_b32 v24, v24, v23, v25
	;;#ASMEND
	;;#ASMSTART
	v_and_or_b32 v29, v29, v23, v25
	;;#ASMEND
	;; [unrolled: 3-line block ×3, first 2 shown]
	v_lshlrev_b32_e32 v13, 16, v22
	v_add_f32_e32 v23, 0xc3080000, v13
	s_mov_b32 s2, 0x7f800000
	v_and_b32_e32 v13, 0x7f800000, v23
	v_cmp_ne_u32_e32 vcc, s2, v13
                                        ; implicit-def: $vgpr13
	s_and_saveexec_b64 s[2:3], vcc
	s_xor_b64 s[2:3], exec, s[2:3]
; %bb.338:
	v_bfe_u32 v13, v23, 16, 1
	s_movk_i32 s4, 0x7fff
	v_add3_u32 v13, v23, v13, s4
                                        ; implicit-def: $vgpr23
; %bb.339:
	s_andn2_saveexec_b64 s[2:3], s[2:3]
; %bb.340:
	v_mov_b32_e32 v13, 0
	v_or_b32_e32 v25, 0x10000, v23
	v_cmp_eq_u32_sdwa vcc, v23, v13 src0_sel:WORD_0 src1_sel:DWORD
	v_cndmask_b32_e32 v13, v25, v23, vcc
; %bb.341:
	s_or_b64 exec, exec, s[2:3]
	v_and_b32_e32 v22, 0xffff0000, v22
	v_add_f32_e32 v23, 0xc3080000, v22
	s_mov_b32 s2, 0x7f800000
	v_and_b32_e32 v22, 0x7f800000, v23
	v_cmp_ne_u32_e32 vcc, s2, v22
                                        ; implicit-def: $vgpr22
	s_and_saveexec_b64 s[2:3], vcc
	s_xor_b64 s[2:3], exec, s[2:3]
; %bb.342:
	v_bfe_u32 v22, v23, 16, 1
	s_movk_i32 s4, 0x7fff
	v_add3_u32 v22, v23, v22, s4
                                        ; implicit-def: $vgpr23
; %bb.343:
	s_andn2_saveexec_b64 s[2:3], s[2:3]
; %bb.344:
	v_mov_b32_e32 v22, 0
	v_or_b32_e32 v25, 0x10000, v23
	v_cmp_eq_u32_sdwa vcc, v23, v22 src0_sel:WORD_0 src1_sel:DWORD
	v_cndmask_b32_e32 v22, v25, v23, vcc
; %bb.345:
	s_or_b64 exec, exec, s[2:3]
	v_lshlrev_b32_e32 v23, 16, v24
	v_add_f32_e32 v25, 0xc3080000, v23
	s_mov_b32 s2, 0x7f800000
	v_and_b32_e32 v23, 0x7f800000, v25
	v_cmp_ne_u32_e32 vcc, s2, v23
                                        ; implicit-def: $vgpr23
	s_and_saveexec_b64 s[2:3], vcc
	s_xor_b64 s[2:3], exec, s[2:3]
; %bb.346:
	v_bfe_u32 v23, v25, 16, 1
	s_movk_i32 s4, 0x7fff
	v_add3_u32 v23, v25, v23, s4
                                        ; implicit-def: $vgpr25
; %bb.347:
	s_andn2_saveexec_b64 s[2:3], s[2:3]
; %bb.348:
	v_mov_b32_e32 v23, 0
	v_or_b32_e32 v30, 0x10000, v25
	v_cmp_eq_u32_sdwa vcc, v25, v23 src0_sel:WORD_0 src1_sel:DWORD
	v_cndmask_b32_e32 v23, v30, v25, vcc
; %bb.349:
	s_or_b64 exec, exec, s[2:3]
	v_and_b32_e32 v24, 0xffff0000, v24
	v_add_f32_e32 v25, 0xc3080000, v24
	s_mov_b32 s2, 0x7f800000
	v_and_b32_e32 v24, 0x7f800000, v25
	v_cmp_ne_u32_e32 vcc, s2, v24
                                        ; implicit-def: $vgpr24
	s_and_saveexec_b64 s[2:3], vcc
	s_xor_b64 s[2:3], exec, s[2:3]
; %bb.350:
	v_bfe_u32 v24, v25, 16, 1
	s_movk_i32 s4, 0x7fff
	v_add3_u32 v24, v25, v24, s4
                                        ; implicit-def: $vgpr25
; %bb.351:
	s_andn2_saveexec_b64 s[2:3], s[2:3]
; %bb.352:
	v_mov_b32_e32 v24, 0
	v_or_b32_e32 v30, 0x10000, v25
	v_cmp_eq_u32_sdwa vcc, v25, v24 src0_sel:WORD_0 src1_sel:DWORD
	v_cndmask_b32_e32 v24, v30, v25, vcc
; %bb.353:
	s_or_b64 exec, exec, s[2:3]
	v_lshlrev_b32_e32 v25, 16, v29
	v_add_f32_e32 v30, 0xc3080000, v25
	s_mov_b32 s2, 0x7f800000
	v_and_b32_e32 v25, 0x7f800000, v30
	v_cmp_ne_u32_e32 vcc, s2, v25
                                        ; implicit-def: $vgpr25
	s_and_saveexec_b64 s[2:3], vcc
	s_xor_b64 s[2:3], exec, s[2:3]
; %bb.354:
	v_bfe_u32 v25, v30, 16, 1
	s_movk_i32 s4, 0x7fff
	v_add3_u32 v25, v30, v25, s4
                                        ; implicit-def: $vgpr30
; %bb.355:
	s_andn2_saveexec_b64 s[2:3], s[2:3]
; %bb.356:
	v_mov_b32_e32 v25, 0
	v_or_b32_e32 v32, 0x10000, v30
	v_cmp_eq_u32_sdwa vcc, v30, v25 src0_sel:WORD_0 src1_sel:DWORD
	v_cndmask_b32_e32 v25, v32, v30, vcc
; %bb.357:
	s_or_b64 exec, exec, s[2:3]
	v_and_b32_e32 v29, 0xffff0000, v29
	v_add_f32_e32 v30, 0xc3080000, v29
	s_mov_b32 s2, 0x7f800000
	v_and_b32_e32 v29, 0x7f800000, v30
	v_cmp_ne_u32_e32 vcc, s2, v29
                                        ; implicit-def: $vgpr29
	s_and_saveexec_b64 s[2:3], vcc
	s_xor_b64 s[2:3], exec, s[2:3]
; %bb.358:
	v_bfe_u32 v29, v30, 16, 1
	s_movk_i32 s4, 0x7fff
	v_add3_u32 v29, v30, v29, s4
                                        ; implicit-def: $vgpr30
; %bb.359:
	s_andn2_saveexec_b64 s[2:3], s[2:3]
; %bb.360:
	v_mov_b32_e32 v29, 0
	v_or_b32_e32 v32, 0x10000, v30
	v_cmp_eq_u32_sdwa vcc, v30, v29 src0_sel:WORD_0 src1_sel:DWORD
	v_cndmask_b32_e32 v29, v32, v30, vcc
; %bb.361:
	s_or_b64 exec, exec, s[2:3]
	v_lshlrev_b32_e32 v30, 16, v31
	v_add_f32_e32 v32, 0xc3080000, v30
	s_mov_b32 s2, 0x7f800000
	v_and_b32_e32 v30, 0x7f800000, v32
	v_cmp_ne_u32_e32 vcc, s2, v30
                                        ; implicit-def: $vgpr30
	s_and_saveexec_b64 s[2:3], vcc
	s_xor_b64 s[2:3], exec, s[2:3]
; %bb.362:
	v_bfe_u32 v30, v32, 16, 1
	s_movk_i32 s4, 0x7fff
	v_add3_u32 v30, v32, v30, s4
                                        ; implicit-def: $vgpr32
; %bb.363:
	s_andn2_saveexec_b64 s[2:3], s[2:3]
; %bb.364:
	v_mov_b32_e32 v30, 0
	v_or_b32_e32 v33, 0x10000, v32
	v_cmp_eq_u32_sdwa vcc, v32, v30 src0_sel:WORD_0 src1_sel:DWORD
	v_cndmask_b32_e32 v30, v33, v32, vcc
; %bb.365:
	s_or_b64 exec, exec, s[2:3]
	v_and_b32_e32 v31, 0xffff0000, v31
	v_add_f32_e32 v32, 0xc3080000, v31
	s_mov_b32 s2, 0x7f800000
	v_and_b32_e32 v31, 0x7f800000, v32
	v_cmp_ne_u32_e32 vcc, s2, v31
                                        ; implicit-def: $vgpr31
	s_and_saveexec_b64 s[2:3], vcc
	s_xor_b64 s[2:3], exec, s[2:3]
; %bb.366:
	v_bfe_u32 v31, v32, 16, 1
	s_movk_i32 s4, 0x7fff
	v_add3_u32 v31, v32, v31, s4
                                        ; implicit-def: $vgpr32
; %bb.367:
	s_andn2_saveexec_b64 s[2:3], s[2:3]
; %bb.368:
	v_mov_b32_e32 v31, 0
	v_or_b32_e32 v33, 0x10000, v32
	v_cmp_eq_u32_sdwa vcc, v32, v31 src0_sel:WORD_0 src1_sel:DWORD
	v_cndmask_b32_e32 v31, v33, v32, vcc
; %bb.369:
	s_or_b64 exec, exec, s[2:3]
	v_and_b32_e32 v13, 0xffff0000, v13
	s_waitcnt vmcnt(0)
	v_lshlrev_b32_e32 v32, 16, v14
	v_and_b32_e32 v14, 0xffff0000, v14
	v_fma_f32 v33, v13, v32, v14
	s_mov_b32 s2, 0x7f800000
	v_and_b32_e32 v13, 0x7f800000, v33
	v_cmp_ne_u32_e32 vcc, s2, v13
                                        ; implicit-def: $vgpr13
	s_and_saveexec_b64 s[2:3], vcc
	s_xor_b64 s[2:3], exec, s[2:3]
; %bb.370:
	v_bfe_u32 v13, v33, 16, 1
	s_movk_i32 s4, 0x7fff
	v_add3_u32 v13, v33, v13, s4
                                        ; implicit-def: $vgpr33
; %bb.371:
	s_andn2_saveexec_b64 s[2:3], s[2:3]
; %bb.372:
	v_mov_b32_e32 v13, 0
	v_or_b32_e32 v34, 0x10000, v33
	v_cmp_eq_u32_sdwa vcc, v33, v13 src0_sel:WORD_0 src1_sel:DWORD
	v_cndmask_b32_e32 v13, v34, v33, vcc
; %bb.373:
	s_or_b64 exec, exec, s[2:3]
	v_and_b32_e32 v22, 0xffff0000, v22
	v_fma_f32 v33, v22, v32, v14
	s_mov_b32 s2, 0x7f800000
	v_and_b32_e32 v22, 0x7f800000, v33
	v_cmp_ne_u32_e32 vcc, s2, v22
                                        ; implicit-def: $vgpr22
	s_and_saveexec_b64 s[2:3], vcc
	s_xor_b64 s[2:3], exec, s[2:3]
; %bb.374:
	v_bfe_u32 v22, v33, 16, 1
	s_movk_i32 s4, 0x7fff
	v_add3_u32 v22, v33, v22, s4
                                        ; implicit-def: $vgpr33
; %bb.375:
	s_andn2_saveexec_b64 s[2:3], s[2:3]
; %bb.376:
	v_mov_b32_e32 v22, 0
	v_or_b32_e32 v34, 0x10000, v33
	v_cmp_eq_u32_sdwa vcc, v33, v22 src0_sel:WORD_0 src1_sel:DWORD
	v_cndmask_b32_e32 v22, v34, v33, vcc
; %bb.377:
	s_or_b64 exec, exec, s[2:3]
	v_and_b32_e32 v23, 0xffff0000, v23
	v_fma_f32 v33, v23, v32, v14
	s_mov_b32 s2, 0x7f800000
	v_and_b32_e32 v23, 0x7f800000, v33
	v_cmp_ne_u32_e32 vcc, s2, v23
                                        ; implicit-def: $vgpr23
	s_and_saveexec_b64 s[2:3], vcc
	s_xor_b64 s[2:3], exec, s[2:3]
; %bb.378:
	v_bfe_u32 v23, v33, 16, 1
	s_movk_i32 s4, 0x7fff
	v_add3_u32 v23, v33, v23, s4
                                        ; implicit-def: $vgpr33
; %bb.379:
	s_andn2_saveexec_b64 s[2:3], s[2:3]
; %bb.380:
	v_mov_b32_e32 v23, 0
	v_or_b32_e32 v34, 0x10000, v33
	v_cmp_eq_u32_sdwa vcc, v33, v23 src0_sel:WORD_0 src1_sel:DWORD
	v_cndmask_b32_e32 v23, v34, v33, vcc
; %bb.381:
	s_or_b64 exec, exec, s[2:3]
	v_and_b32_e32 v24, 0xffff0000, v24
	v_fma_f32 v33, v24, v32, v14
	s_mov_b32 s2, 0x7f800000
	v_and_b32_e32 v24, 0x7f800000, v33
	v_cmp_ne_u32_e32 vcc, s2, v24
                                        ; implicit-def: $vgpr24
	s_and_saveexec_b64 s[2:3], vcc
	s_xor_b64 s[2:3], exec, s[2:3]
; %bb.382:
	v_bfe_u32 v24, v33, 16, 1
	s_movk_i32 s4, 0x7fff
	v_add3_u32 v24, v33, v24, s4
                                        ; implicit-def: $vgpr33
; %bb.383:
	s_andn2_saveexec_b64 s[2:3], s[2:3]
; %bb.384:
	v_mov_b32_e32 v24, 0
	v_or_b32_e32 v34, 0x10000, v33
	v_cmp_eq_u32_sdwa vcc, v33, v24 src0_sel:WORD_0 src1_sel:DWORD
	v_cndmask_b32_e32 v24, v34, v33, vcc
; %bb.385:
	s_or_b64 exec, exec, s[2:3]
	v_and_b32_e32 v25, 0xffff0000, v25
	v_fma_f32 v33, v25, v32, v14
	s_mov_b32 s2, 0x7f800000
	v_and_b32_e32 v25, 0x7f800000, v33
	v_cmp_ne_u32_e32 vcc, s2, v25
                                        ; implicit-def: $vgpr25
	s_and_saveexec_b64 s[2:3], vcc
	s_xor_b64 s[2:3], exec, s[2:3]
; %bb.386:
	v_bfe_u32 v25, v33, 16, 1
	s_movk_i32 s4, 0x7fff
	v_add3_u32 v25, v33, v25, s4
                                        ; implicit-def: $vgpr33
; %bb.387:
	s_andn2_saveexec_b64 s[2:3], s[2:3]
; %bb.388:
	v_mov_b32_e32 v25, 0
	v_or_b32_e32 v34, 0x10000, v33
	v_cmp_eq_u32_sdwa vcc, v33, v25 src0_sel:WORD_0 src1_sel:DWORD
	v_cndmask_b32_e32 v25, v34, v33, vcc
; %bb.389:
	s_or_b64 exec, exec, s[2:3]
	v_and_b32_e32 v29, 0xffff0000, v29
	v_fma_f32 v33, v29, v32, v14
	s_mov_b32 s2, 0x7f800000
	v_and_b32_e32 v29, 0x7f800000, v33
	v_cmp_ne_u32_e32 vcc, s2, v29
                                        ; implicit-def: $vgpr29
	s_and_saveexec_b64 s[2:3], vcc
	s_xor_b64 s[2:3], exec, s[2:3]
; %bb.390:
	v_bfe_u32 v29, v33, 16, 1
	s_movk_i32 s4, 0x7fff
	v_add3_u32 v29, v33, v29, s4
                                        ; implicit-def: $vgpr33
; %bb.391:
	s_andn2_saveexec_b64 s[2:3], s[2:3]
; %bb.392:
	v_mov_b32_e32 v29, 0
	v_or_b32_e32 v34, 0x10000, v33
	v_cmp_eq_u32_sdwa vcc, v33, v29 src0_sel:WORD_0 src1_sel:DWORD
	v_cndmask_b32_e32 v29, v34, v33, vcc
; %bb.393:
	s_or_b64 exec, exec, s[2:3]
	v_and_b32_e32 v30, 0xffff0000, v30
	v_fma_f32 v33, v30, v32, v14
	s_mov_b32 s2, 0x7f800000
	v_and_b32_e32 v30, 0x7f800000, v33
	v_cmp_ne_u32_e32 vcc, s2, v30
                                        ; implicit-def: $vgpr30
	s_and_saveexec_b64 s[2:3], vcc
	s_xor_b64 s[2:3], exec, s[2:3]
; %bb.394:
	v_bfe_u32 v30, v33, 16, 1
	s_movk_i32 s4, 0x7fff
	v_add3_u32 v30, v33, v30, s4
                                        ; implicit-def: $vgpr33
; %bb.395:
	s_andn2_saveexec_b64 s[2:3], s[2:3]
; %bb.396:
	v_mov_b32_e32 v30, 0
	v_or_b32_e32 v34, 0x10000, v33
	v_cmp_eq_u32_sdwa vcc, v33, v30 src0_sel:WORD_0 src1_sel:DWORD
	v_cndmask_b32_e32 v30, v34, v33, vcc
; %bb.397:
	s_or_b64 exec, exec, s[2:3]
	v_and_b32_e32 v31, 0xffff0000, v31
	v_fmac_f32_e32 v14, v31, v32
	s_mov_b32 s2, 0x7f800000
	v_and_b32_e32 v31, 0x7f800000, v14
	v_cmp_ne_u32_e32 vcc, s2, v31
                                        ; implicit-def: $vgpr31
	s_and_saveexec_b64 s[2:3], vcc
	s_xor_b64 s[2:3], exec, s[2:3]
; %bb.398:
	v_bfe_u32 v31, v14, 16, 1
	s_movk_i32 s4, 0x7fff
	v_add3_u32 v31, v14, v31, s4
                                        ; implicit-def: $vgpr14
; %bb.399:
	s_andn2_saveexec_b64 s[2:3], s[2:3]
; %bb.400:
	v_mov_b32_e32 v31, 0
	v_or_b32_e32 v32, 0x10000, v14
	v_cmp_eq_u32_sdwa vcc, v14, v31 src0_sel:WORD_0 src1_sel:DWORD
	v_cndmask_b32_e32 v31, v32, v14, vcc
; %bb.401:
	s_or_b64 exec, exec, s[2:3]
	s_mov_b32 s2, 0x3020706
	v_perm_b32 v17, v16, v17, s2
	v_perm_b32 v16, v12, v15, s2
	;; [unrolled: 1-line block ×3, first 2 shown]
	s_nop 0
	v_mfma_f32_16x16x16bf16_1k v[14:17], v[10:11], v[16:17], 0
	v_perm_b32 v11, v20, v21, s2
	v_perm_b32 v10, v18, v19, s2
	;; [unrolled: 1-line block ×5, first 2 shown]
	s_nop 5
	v_pk_add_f32 v[2:3], v[2:3], v[16:17]
	v_mfma_f32_16x16x16bf16_1k v[8:11], v[8:9], v[10:11], 0
	v_pk_add_f32 v[0:1], v[0:1], v[14:15]
	v_mfma_f32_16x16x16bf16_1k v[18:21], v[4:5], v[18:19], 0
	s_nop 7
	s_nop 0
	v_pk_add_f32 v[2:3], v[2:3], v[10:11]
	v_pk_add_f32 v[0:1], v[0:1], v[8:9]
	;; [unrolled: 1-line block ×4, first 2 shown]
	v_mfma_f32_16x16x16bf16_1k v[0:3], v[6:7], v[12:13], 0
	s_nop 7
	s_nop 2
	v_pk_add_f32 v[2:3], v[4:5], v[2:3]
	v_pk_add_f32 v[0:1], v[8:9], v[0:1]
.LBB1_402:
	s_or_b64 exec, exec, s[0:1]
	v_lshlrev_b32_e32 v29, 4, v26
	v_lshl_add_u32 v4, v28, 10, v29
	v_cmp_eq_u32_e32 vcc, 0, v28
	ds_write_b128 v4, v[0:3]
	s_waitcnt lgkmcnt(0)
	s_barrier
	s_and_saveexec_b64 s[0:1], vcc
	s_cbranch_execz .LBB1_427
; %bb.403:
	v_add_u32_e32 v0, 12, v29
	v_add_u32_e32 v1, 0x404, v29
	;; [unrolled: 1-line block ×4, first 2 shown]
	ds_read2st64_b32 v[2:3], v0 offset1:4
	ds_read2st64_b32 v[4:5], v0 offset0:8 offset1:12
	ds_read2_b32 v[10:11], v29 offset0:1 offset1:2
	ds_read2_b32 v[12:13], v1 offset1:1
	ds_read2_b32 v[14:15], v6 offset1:1
	;; [unrolled: 1-line block ×3, first 2 shown]
	v_add_u32_e32 v1, 0x1004, v29
	ds_read2st64_b32 v[6:7], v0 offset0:16 offset1:20
	v_add_u32_e32 v20, 0x1404, v29
	v_add_u32_e32 v22, 0x1804, v29
	ds_read2st64_b32 v[8:9], v0 offset0:24 offset1:28
	v_add_u32_e32 v0, 0x1c04, v29
	ds_read2_b32 v[18:19], v1 offset1:1
	ds_read2_b32 v[20:21], v20 offset1:1
	;; [unrolled: 1-line block ×4, first 2 shown]
	v_and_b32_e32 v0, 0xfc, v27
	v_lshl_add_u32 v27, s8, 4, v0
	v_mul_lo_u32 v30, v27, s17
	v_ashrrev_i32_e32 v31, 31, v30
	s_lshl_b32 s0, s7, 4
	v_lshlrev_b64 v[30:31], 1, v[30:31]
	v_and_or_b32 v0, v26, 15, s0
	v_mov_b32_e32 v1, s15
	v_add_co_u32_e32 v26, vcc, s14, v30
	v_addc_co_u32_e32 v28, vcc, v1, v31, vcc
	v_ashrrev_i32_e32 v1, 31, v0
	v_lshlrev_b64 v[0:1], 1, v[0:1]
	v_add_co_u32_e32 v0, vcc, v26, v0
	v_addc_co_u32_e32 v1, vcc, v28, v1, vcc
	v_cmp_gt_i32_e32 vcc, s16, v27
	s_and_saveexec_b64 s[0:1], vcc
	s_cbranch_execz .LBB1_409
; %bb.404:
	ds_read2st64_b32 v[30:31], v29 offset1:4
	ds_read2st64_b32 v[32:33], v29 offset0:8 offset1:12
	ds_read2st64_b32 v[34:35], v29 offset0:16 offset1:20
	;; [unrolled: 1-line block ×3, first 2 shown]
	s_mov_b32 s2, 0x7f800000
	s_waitcnt lgkmcnt(3)
	v_add_f32_e32 v26, 0, v30
	v_add_f32_e32 v26, v26, v31
	s_waitcnt lgkmcnt(2)
	v_add_f32_e32 v26, v26, v32
	v_add_f32_e32 v26, v26, v33
	;; [unrolled: 3-line block ×4, first 2 shown]
	v_and_b32_e32 v28, 0x7f800000, v26
	v_cmp_ne_u32_e32 vcc, s2, v28
                                        ; implicit-def: $vgpr28
	s_and_saveexec_b64 s[2:3], vcc
	s_xor_b64 s[2:3], exec, s[2:3]
; %bb.405:
	v_bfe_u32 v28, v26, 16, 1
	s_movk_i32 s4, 0x7fff
	v_add3_u32 v28, v26, v28, s4
                                        ; implicit-def: $vgpr26
; %bb.406:
	s_andn2_saveexec_b64 s[2:3], s[2:3]
; %bb.407:
	v_mov_b32_e32 v28, 0
	v_or_b32_e32 v29, 0x10000, v26
	v_cmp_eq_u32_sdwa vcc, v26, v28 src0_sel:WORD_0 src1_sel:DWORD
	v_cndmask_b32_e32 v28, v29, v26, vcc
; %bb.408:
	s_or_b64 exec, exec, s[2:3]
	global_store_short_d16_hi v[0:1], v28, off
.LBB1_409:
	s_or_b64 exec, exec, s[0:1]
	v_or_b32_e32 v26, 1, v27
	v_cmp_gt_i32_e32 vcc, s16, v26
	s_and_saveexec_b64 s[0:1], vcc
	s_cbranch_execz .LBB1_415
; %bb.410:
	s_waitcnt lgkmcnt(9)
	v_add_f32_e32 v10, 0, v10
	s_waitcnt lgkmcnt(8)
	v_add_f32_e32 v10, v10, v12
	s_waitcnt lgkmcnt(7)
	v_add_f32_e32 v10, v10, v14
	s_waitcnt lgkmcnt(6)
	v_add_f32_e32 v10, v10, v16
	s_waitcnt lgkmcnt(3)
	v_add_f32_e32 v10, v10, v18
	s_waitcnt lgkmcnt(2)
	v_add_f32_e32 v10, v10, v20
	s_waitcnt lgkmcnt(1)
	v_add_f32_e32 v10, v10, v22
	s_waitcnt lgkmcnt(0)
	v_add_f32_e32 v12, v10, v24
	s_mov_b32 s2, 0x7f800000
	v_and_b32_e32 v10, 0x7f800000, v12
	v_cmp_ne_u32_e32 vcc, s2, v10
                                        ; implicit-def: $vgpr10
	s_and_saveexec_b64 s[2:3], vcc
	s_xor_b64 s[2:3], exec, s[2:3]
; %bb.411:
	v_bfe_u32 v10, v12, 16, 1
	s_movk_i32 s4, 0x7fff
	v_add3_u32 v10, v12, v10, s4
                                        ; implicit-def: $vgpr12
; %bb.412:
	s_andn2_saveexec_b64 s[2:3], s[2:3]
; %bb.413:
	v_mov_b32_e32 v10, 0
	v_or_b32_e32 v14, 0x10000, v12
	v_cmp_eq_u32_sdwa vcc, v12, v10 src0_sel:WORD_0 src1_sel:DWORD
	v_cndmask_b32_e32 v10, v14, v12, vcc
; %bb.414:
	s_or_b64 exec, exec, s[2:3]
	s_ashr_i32 s3, s17, 31
	s_mov_b32 s2, s17
	s_lshl_b64 s[2:3], s[2:3], 1
	v_mov_b32_e32 v12, s3
	v_add_co_u32_e32 v28, vcc, s2, v0
	v_addc_co_u32_e32 v29, vcc, v1, v12, vcc
	global_store_short_d16_hi v[28:29], v10, off
.LBB1_415:
	s_or_b64 exec, exec, s[0:1]
	s_waitcnt lgkmcnt(9)
	v_or_b32_e32 v10, 2, v27
	v_cmp_gt_i32_e32 vcc, s16, v10
	s_and_saveexec_b64 s[0:1], vcc
	s_cbranch_execz .LBB1_421
; %bb.416:
	v_add_f32_e32 v10, 0, v11
	s_waitcnt lgkmcnt(8)
	v_add_f32_e32 v10, v10, v13
	s_waitcnt lgkmcnt(7)
	;; [unrolled: 2-line block ×7, first 2 shown]
	v_add_f32_e32 v11, v10, v25
	s_mov_b32 s2, 0x7f800000
	v_and_b32_e32 v10, 0x7f800000, v11
	v_cmp_ne_u32_e32 vcc, s2, v10
                                        ; implicit-def: $vgpr10
	s_and_saveexec_b64 s[2:3], vcc
	s_xor_b64 s[2:3], exec, s[2:3]
; %bb.417:
	v_bfe_u32 v10, v11, 16, 1
	s_movk_i32 s4, 0x7fff
	v_add3_u32 v10, v11, v10, s4
                                        ; implicit-def: $vgpr11
; %bb.418:
	s_andn2_saveexec_b64 s[2:3], s[2:3]
; %bb.419:
	v_mov_b32_e32 v10, 0
	v_or_b32_e32 v12, 0x10000, v11
	v_cmp_eq_u32_sdwa vcc, v11, v10 src0_sel:WORD_0 src1_sel:DWORD
	v_cndmask_b32_e32 v10, v12, v11, vcc
; %bb.420:
	s_or_b64 exec, exec, s[2:3]
	s_lshl_b32 s2, s17, 1
	s_ashr_i32 s3, s2, 31
	s_lshl_b64 s[2:3], s[2:3], 1
	v_mov_b32_e32 v11, s3
	v_add_co_u32_e32 v12, vcc, s2, v0
	v_addc_co_u32_e32 v13, vcc, v1, v11, vcc
	global_store_short_d16_hi v[12:13], v10, off
.LBB1_421:
	s_or_b64 exec, exec, s[0:1]
	v_or_b32_e32 v10, 3, v27
	v_cmp_gt_i32_e32 vcc, s16, v10
	s_and_b64 exec, exec, vcc
	s_cbranch_execz .LBB1_427
; %bb.422:
	v_add_f32_e32 v2, 0, v2
	v_add_f32_e32 v2, v2, v3
	;; [unrolled: 1-line block ×4, first 2 shown]
	s_waitcnt lgkmcnt(5)
	v_add_f32_e32 v2, v2, v6
	v_add_f32_e32 v2, v2, v7
	s_waitcnt lgkmcnt(4)
	v_add_f32_e32 v2, v2, v8
	v_add_f32_e32 v3, v2, v9
	s_mov_b32 s0, 0x7f800000
	v_and_b32_e32 v2, 0x7f800000, v3
	v_cmp_ne_u32_e32 vcc, s0, v2
                                        ; implicit-def: $vgpr2
	s_and_saveexec_b64 s[0:1], vcc
	s_xor_b64 s[0:1], exec, s[0:1]
; %bb.423:
	v_bfe_u32 v2, v3, 16, 1
	s_movk_i32 s2, 0x7fff
	v_add3_u32 v2, v3, v2, s2
                                        ; implicit-def: $vgpr3
; %bb.424:
	s_andn2_saveexec_b64 s[0:1], s[0:1]
; %bb.425:
	v_mov_b32_e32 v2, 0
	v_or_b32_e32 v4, 0x10000, v3
	v_cmp_eq_u32_sdwa vcc, v3, v2 src0_sel:WORD_0 src1_sel:DWORD
	v_cndmask_b32_e32 v2, v4, v3, vcc
; %bb.426:
	s_or_b64 exec, exec, s[0:1]
	s_mul_i32 s0, s17, 3
	s_ashr_i32 s1, s0, 31
	s_lshl_b64 s[0:1], s[0:1], 1
	v_mov_b32_e32 v3, s1
	v_add_co_u32_e32 v0, vcc, s0, v0
	v_addc_co_u32_e32 v1, vcc, v1, v3, vcc
	global_store_short_d16_hi v[0:1], v2, off
.LBB1_427:
	s_endpgm
	.section	.rodata,"a",@progbits
	.p2align	6, 0x0
	.amdhsa_kernel _ZN2at6native30tinygemm_m16n8k16_chunk_kernelINS0_10ALayout_RMILNS0_14KReductionTypeE0EEENS0_15BLayout_TC_int4ILi4ELi32EEES4_Li8ELi8EEEvPKvS8_S8_Pviiiiii
		.amdhsa_group_segment_fixed_size 8192
		.amdhsa_private_segment_fixed_size 0
		.amdhsa_kernarg_size 56
		.amdhsa_user_sgpr_count 6
		.amdhsa_user_sgpr_private_segment_buffer 1
		.amdhsa_user_sgpr_dispatch_ptr 0
		.amdhsa_user_sgpr_queue_ptr 0
		.amdhsa_user_sgpr_kernarg_segment_ptr 1
		.amdhsa_user_sgpr_dispatch_id 0
		.amdhsa_user_sgpr_flat_scratch_init 0
		.amdhsa_user_sgpr_kernarg_preload_length 0
		.amdhsa_user_sgpr_kernarg_preload_offset 0
		.amdhsa_user_sgpr_private_segment_size 0
		.amdhsa_uses_dynamic_stack 0
		.amdhsa_system_sgpr_private_segment_wavefront_offset 0
		.amdhsa_system_sgpr_workgroup_id_x 1
		.amdhsa_system_sgpr_workgroup_id_y 1
		.amdhsa_system_sgpr_workgroup_id_z 1
		.amdhsa_system_sgpr_workgroup_info 0
		.amdhsa_system_vgpr_workitem_id 1
		.amdhsa_next_free_vgpr 70
		.amdhsa_next_free_sgpr 37
		.amdhsa_accum_offset 72
		.amdhsa_reserve_vcc 1
		.amdhsa_reserve_flat_scratch 0
		.amdhsa_float_round_mode_32 0
		.amdhsa_float_round_mode_16_64 0
		.amdhsa_float_denorm_mode_32 3
		.amdhsa_float_denorm_mode_16_64 3
		.amdhsa_dx10_clamp 1
		.amdhsa_ieee_mode 1
		.amdhsa_fp16_overflow 0
		.amdhsa_tg_split 0
		.amdhsa_exception_fp_ieee_invalid_op 0
		.amdhsa_exception_fp_denorm_src 0
		.amdhsa_exception_fp_ieee_div_zero 0
		.amdhsa_exception_fp_ieee_overflow 0
		.amdhsa_exception_fp_ieee_underflow 0
		.amdhsa_exception_fp_ieee_inexact 0
		.amdhsa_exception_int_div_zero 0
	.end_amdhsa_kernel
	.section	.text._ZN2at6native30tinygemm_m16n8k16_chunk_kernelINS0_10ALayout_RMILNS0_14KReductionTypeE0EEENS0_15BLayout_TC_int4ILi4ELi32EEES4_Li8ELi8EEEvPKvS8_S8_Pviiiiii,"axG",@progbits,_ZN2at6native30tinygemm_m16n8k16_chunk_kernelINS0_10ALayout_RMILNS0_14KReductionTypeE0EEENS0_15BLayout_TC_int4ILi4ELi32EEES4_Li8ELi8EEEvPKvS8_S8_Pviiiiii,comdat
.Lfunc_end1:
	.size	_ZN2at6native30tinygemm_m16n8k16_chunk_kernelINS0_10ALayout_RMILNS0_14KReductionTypeE0EEENS0_15BLayout_TC_int4ILi4ELi32EEES4_Li8ELi8EEEvPKvS8_S8_Pviiiiii, .Lfunc_end1-_ZN2at6native30tinygemm_m16n8k16_chunk_kernelINS0_10ALayout_RMILNS0_14KReductionTypeE0EEENS0_15BLayout_TC_int4ILi4ELi32EEES4_Li8ELi8EEEvPKvS8_S8_Pviiiiii
                                        ; -- End function
	.section	.AMDGPU.csdata,"",@progbits
; Kernel info:
; codeLenInByte = 11696
; NumSgprs: 41
; NumVgprs: 70
; NumAgprs: 0
; TotalNumVgprs: 70
; ScratchSize: 0
; MemoryBound: 0
; FloatMode: 240
; IeeeMode: 1
; LDSByteSize: 8192 bytes/workgroup (compile time only)
; SGPRBlocks: 5
; VGPRBlocks: 8
; NumSGPRsForWavesPerEU: 41
; NumVGPRsForWavesPerEU: 70
; AccumOffset: 72
; Occupancy: 7
; WaveLimiterHint : 1
; COMPUTE_PGM_RSRC2:SCRATCH_EN: 0
; COMPUTE_PGM_RSRC2:USER_SGPR: 6
; COMPUTE_PGM_RSRC2:TRAP_HANDLER: 0
; COMPUTE_PGM_RSRC2:TGID_X_EN: 1
; COMPUTE_PGM_RSRC2:TGID_Y_EN: 1
; COMPUTE_PGM_RSRC2:TGID_Z_EN: 1
; COMPUTE_PGM_RSRC2:TIDIG_COMP_CNT: 1
; COMPUTE_PGM_RSRC3_GFX90A:ACCUM_OFFSET: 17
; COMPUTE_PGM_RSRC3_GFX90A:TG_SPLIT: 0
	.section	.text._ZN2at6native30tinygemm_m16n8k16_chunk_kernelINS0_10ALayout_RMILNS0_14KReductionTypeE0EEENS0_15BLayout_TC_int4ILi8ELi32EEES4_Li8ELi8EEEvPKvS8_S8_Pviiiiii,"axG",@progbits,_ZN2at6native30tinygemm_m16n8k16_chunk_kernelINS0_10ALayout_RMILNS0_14KReductionTypeE0EEENS0_15BLayout_TC_int4ILi8ELi32EEES4_Li8ELi8EEEvPKvS8_S8_Pviiiiii,comdat
	.protected	_ZN2at6native30tinygemm_m16n8k16_chunk_kernelINS0_10ALayout_RMILNS0_14KReductionTypeE0EEENS0_15BLayout_TC_int4ILi8ELi32EEES4_Li8ELi8EEEvPKvS8_S8_Pviiiiii ; -- Begin function _ZN2at6native30tinygemm_m16n8k16_chunk_kernelINS0_10ALayout_RMILNS0_14KReductionTypeE0EEENS0_15BLayout_TC_int4ILi8ELi32EEES4_Li8ELi8EEEvPKvS8_S8_Pviiiiii
	.globl	_ZN2at6native30tinygemm_m16n8k16_chunk_kernelINS0_10ALayout_RMILNS0_14KReductionTypeE0EEENS0_15BLayout_TC_int4ILi8ELi32EEES4_Li8ELi8EEEvPKvS8_S8_Pviiiiii
	.p2align	8
	.type	_ZN2at6native30tinygemm_m16n8k16_chunk_kernelINS0_10ALayout_RMILNS0_14KReductionTypeE0EEENS0_15BLayout_TC_int4ILi8ELi32EEES4_Li8ELi8EEEvPKvS8_S8_Pviiiiii,@function
_ZN2at6native30tinygemm_m16n8k16_chunk_kernelINS0_10ALayout_RMILNS0_14KReductionTypeE0EEENS0_15BLayout_TC_int4ILi8ELi32EEES4_Li8ELi8EEEvPKvS8_S8_Pviiiiii: ; @_ZN2at6native30tinygemm_m16n8k16_chunk_kernelINS0_10ALayout_RMILNS0_14KReductionTypeE0EEENS0_15BLayout_TC_int4ILi8ELi32EEES4_Li8ELi8EEEvPKvS8_S8_Pviiiiii
; %bb.0:
	s_load_dwordx2 s[2:3], s[4:5], 0x30
	s_load_dwordx4 s[20:23], s[4:5], 0x0
	s_load_dwordx8 s[12:19], s[4:5], 0x10
	v_bfe_u32 v28, v0, 10, 10
	s_mov_b32 s24, 0
	s_waitcnt lgkmcnt(0)
	s_ashr_i32 s0, s3, 31
	s_lshr_b32 s0, s0, 29
	s_add_i32 s0, s3, s0
	v_lshlrev_b32_e32 v31, 3, v28
	s_mov_b32 s25, s24
	v_and_b32_e32 v26, 0x3ff, v0
	s_ashr_i32 s9, s0, 3
	s_and_b32 s19, s0, -8
	v_lshl_add_u32 v32, s6, 6, v31
	s_mov_b32 s26, s24
	s_mov_b32 s27, s24
	v_pk_mov_b32 v[0:1], s[24:25], s[24:25] op_sel:[0,1]
	v_cmp_gt_i32_e32 vcc, s19, v32
	v_pk_mov_b32 v[2:3], s[26:27], s[26:27] op_sel:[0,1]
	s_mul_i32 s9, s9, s7
	v_and_b32_e32 v29, 15, v26
	v_lshrrev_b32_e32 v27, 2, v26
	v_lshlrev_b32_e32 v30, 2, v26
	s_mul_i32 s4, s2, 0x60
	s_and_saveexec_b64 s[10:11], vcc
	s_cbranch_execz .LBB2_268
; %bb.1:
	v_lshl_or_b32 v2, s8, 4, v29
	v_mul_lo_u32 v0, v2, s18
	v_ashrrev_i32_e32 v1, 31, v0
	v_lshlrev_b64 v[0:1], 1, v[0:1]
	v_mov_b32_e32 v4, s21
	v_add_co_u32_e32 v33, vcc, s20, v0
	s_lshl_b32 s0, s2, 5
	s_lshl_b32 s28, s2, 6
	v_and_b32_e32 v3, 0xfc, v27
	v_addc_co_u32_e32 v34, vcc, v4, v1, vcc
	s_ashr_i32 s1, s0, 31
	s_ashr_i32 s29, s28, 31
	;; [unrolled: 1-line block ×3, first 2 shown]
	s_lshl_b32 s6, s6, 10
	v_lshlrev_b32_e32 v0, 7, v28
	v_mov_b32_e32 v36, 0
	v_cmp_gt_i32_e32 vcc, s16, v2
	v_lshl_or_b32 v35, s7, 4, v29
	s_lshl_b32 s33, s2, 4
	v_add3_u32 v8, s6, v0, v3
	s_mov_b64 s[24:25], 0
	s_lshl_b64 s[26:27], s[0:1], 1
	s_lshl_b64 s[28:29], s[28:29], 1
	;; [unrolled: 1-line block ×3, first 2 shown]
	v_mov_b32_e32 v37, 0xf000f
	v_mov_b32_e32 v38, 0x43004300
	s_mov_b32 s5, 0x7f800000
	s_movk_i32 s6, 0x7fff
	s_mov_b32 s36, 0x3020706
	v_mov_b32_e32 v0, 0
	v_mov_b32_e32 v1, v36
	;; [unrolled: 1-line block ×4, first 2 shown]
	s_branch .LBB2_3
.LBB2_2:                                ;   in Loop: Header=BB2_3 Depth=1
	s_or_b64 exec, exec, s[34:35]
	v_perm_b32 v41, v40, v41, s36
	v_perm_b32 v40, v4, v39, s36
	v_perm_b32 v4, v50, v51, s36
	v_add_u32_e32 v32, 64, v32
	v_mfma_f32_16x16x16bf16_1k v[68:71], v[12:13], v[40:41], 0
	v_perm_b32 v13, v44, v45, s36
	v_perm_b32 v12, v42, v43, s36
	;; [unrolled: 1-line block ×7, first 2 shown]
	v_mfma_f32_16x16x16bf16_1k v[10:13], v[10:11], v[12:13], 0
	s_nop 2
	v_pk_add_f32 v[2:3], v[2:3], v[70:71]
	v_pk_add_f32 v[0:1], v[0:1], v[68:69]
	v_cmp_le_i32_e64 s[0:1], s19, v32
	s_or_b64 s[24:25], s[0:1], s[24:25]
	v_add_u32_e32 v8, 0x400, v8
	s_nop 2
	v_pk_add_f32 v[2:3], v[2:3], v[12:13]
	v_mfma_f32_16x16x16bf16_1k v[40:43], v[20:21], v[40:41], 0
	v_pk_add_f32 v[0:1], v[0:1], v[10:11]
	v_mfma_f32_16x16x16bf16_1k v[18:21], v[18:19], v[4:5], 0
	v_perm_b32 v5, v54, v55, s36
	v_perm_b32 v4, v6, v46, s36
	s_nop 6
	v_pk_add_f32 v[2:3], v[2:3], v[42:43]
	v_pk_add_f32 v[10:11], v[0:1], v[40:41]
	v_mfma_f32_16x16x16bf16_1k v[44:47], v[14:15], v[4:5], 0
	v_perm_b32 v5, v58, v59, s36
	v_perm_b32 v4, v56, v57, s36
	;; [unrolled: 1-line block ×4, first 2 shown]
	v_pk_add_f32 v[12:13], v[2:3], v[20:21]
	v_pk_add_f32 v[10:11], v[10:11], v[18:19]
	s_nop 4
	v_pk_add_f32 v[12:13], v[12:13], v[46:47]
	v_mfma_f32_16x16x16bf16_1k v[4:7], v[24:25], v[4:5], 0
	v_pk_add_f32 v[10:11], v[10:11], v[44:45]
	v_mfma_f32_16x16x16bf16_1k v[0:3], v[22:23], v[14:15], 0
	s_nop 7
	s_nop 0
	v_pk_add_f32 v[6:7], v[12:13], v[6:7]
	v_pk_add_f32 v[4:5], v[10:11], v[4:5]
	;; [unrolled: 1-line block ×4, first 2 shown]
	v_mfma_f32_16x16x16bf16_1k v[0:3], v[16:17], v[48:49], 0
	s_nop 7
	s_nop 2
	v_pk_add_f32 v[2:3], v[6:7], v[2:3]
	v_pk_add_f32 v[0:1], v[4:5], v[0:1]
	s_andn2_b64 exec, exec, s[24:25]
	s_cbranch_execz .LBB2_267
.LBB2_3:                                ; =>This Inner Loop Header: Depth=1
	v_ashrrev_i32_e32 v9, 31, v8
	v_lshlrev_b64 v[4:5], 1, v[8:9]
	v_add_co_u32_e64 v4, s[0:1], v33, v4
	v_addc_co_u32_e64 v5, s[0:1], v34, v5, s[0:1]
	v_mov_b32_e32 v12, 0
	v_mov_b32_e32 v13, 0
	;; [unrolled: 1-line block ×4, first 2 shown]
	s_and_saveexec_b64 s[0:1], vcc
	s_cbranch_execz .LBB2_5
; %bb.4:                                ;   in Loop: Header=BB2_3 Depth=1
	global_load_dwordx2 v[12:13], v[4:5], off
	global_load_dwordx2 v[10:11], v[4:5], off offset:32
.LBB2_5:                                ;   in Loop: Header=BB2_3 Depth=1
	s_or_b64 exec, exec, s[0:1]
	v_mov_b32_e32 v14, 0
	v_mov_b32_e32 v20, 0
	v_mov_b32_e32 v21, 0
	v_mov_b32_e32 v18, 0
	v_mov_b32_e32 v19, 0
	s_and_saveexec_b64 s[0:1], vcc
	s_cbranch_execz .LBB2_7
; %bb.6:                                ;   in Loop: Header=BB2_3 Depth=1
	global_load_dwordx2 v[20:21], v[4:5], off offset:64
	global_load_dwordx2 v[18:19], v[4:5], off offset:96
.LBB2_7:                                ;   in Loop: Header=BB2_3 Depth=1
	s_or_b64 exec, exec, s[0:1]
	v_mov_b32_e32 v15, 0
	v_mov_b32_e32 v24, 0
	v_mov_b32_e32 v25, 0
	s_and_saveexec_b64 s[0:1], vcc
	s_cbranch_execz .LBB2_9
; %bb.8:                                ;   in Loop: Header=BB2_3 Depth=1
	global_load_dwordx2 v[14:15], v[4:5], off offset:128
	global_load_dwordx2 v[24:25], v[4:5], off offset:160
.LBB2_9:                                ;   in Loop: Header=BB2_3 Depth=1
	s_or_b64 exec, exec, s[0:1]
	v_mov_b32_e32 v22, 0
	v_mov_b32_e32 v23, 0
	;; [unrolled: 1-line block ×4, first 2 shown]
	s_and_saveexec_b64 s[0:1], vcc
	s_cbranch_execz .LBB2_11
; %bb.10:                               ;   in Loop: Header=BB2_3 Depth=1
	global_load_dwordx2 v[22:23], v[4:5], off offset:192
	global_load_dwordx2 v[16:17], v[4:5], off offset:224
.LBB2_11:                               ;   in Loop: Header=BB2_3 Depth=1
	s_or_b64 exec, exec, s[0:1]
	v_lshrrev_b32_e32 v4, 3, v32
	v_add_u32_e32 v4, s9, v4
	v_lshl_add_u32 v4, v4, 8, v30
	v_lshrrev_b32_e32 v9, 1, v32
	v_ashrrev_i32_e32 v5, 31, v4
	v_mul_lo_u32 v9, s33, v9
	v_lshlrev_b64 v[4:5], 2, v[4:5]
	v_add_lshl_u32 v40, v35, v9, 1
	v_mov_b32_e32 v6, s23
	v_add_co_u32_e64 v4, s[0:1], s22, v4
	v_ashrrev_i32_e32 v41, 31, v40
	v_addc_co_u32_e64 v5, s[0:1], v6, v5, s[0:1]
	v_lshlrev_b64 v[40:41], 1, v[40:41]
	v_mov_b32_e32 v9, s13
	v_add_co_u32_e64 v40, s[0:1], s12, v40
	v_addc_co_u32_e64 v41, s[0:1], v9, v41, s[0:1]
	v_mov_b32_e32 v9, s27
	v_add_co_u32_e64 v42, s[0:1], s26, v40
	v_addc_co_u32_e64 v43, s[0:1], v41, v9, s[0:1]
	global_load_dwordx4 v[4:7], v[4:5], off
	v_mov_b32_e32 v9, s29
	v_add_co_u32_e64 v44, s[0:1], s28, v40
	v_addc_co_u32_e64 v45, s[0:1], v41, v9, s[0:1]
	v_mov_b32_e32 v9, s31
	v_add_co_u32_e64 v48, s[0:1], s30, v40
	v_addc_co_u32_e64 v49, s[0:1], v41, v9, s[0:1]
	global_load_dword v39, v[40:41], off
	global_load_dword v47, v[42:43], off
	global_load_dword v46, v[44:45], off
	global_load_dword v9, v[48:49], off
	s_waitcnt vmcnt(4)
	;;#ASMSTART
	v_and_or_b32 v40, v4, v37, v38
	;;#ASMEND
	v_lshrrev_b32_e32 v41, 4, v4
	v_lshrrev_b32_e32 v43, 8, v4
	v_lshrrev_b32_e32 v4, 12, v4
	;;#ASMSTART
	v_and_or_b32 v42, v41, v37, v38
	;;#ASMEND
	;;#ASMSTART
	v_and_or_b32 v44, v43, v37, v38
	;;#ASMEND
	;; [unrolled: 3-line block ×3, first 2 shown]
	v_lshlrev_b32_e32 v4, 16, v40
	v_add_f32_e32 v41, 0xc3080000, v4
	v_and_b32_e32 v4, 0x7f800000, v41
	v_cmp_ne_u32_e64 s[0:1], s5, v4
                                        ; implicit-def: $vgpr4
	s_and_saveexec_b64 s[34:35], s[0:1]
	s_xor_b64 s[0:1], exec, s[34:35]
; %bb.12:                               ;   in Loop: Header=BB2_3 Depth=1
	v_bfe_u32 v4, v41, 16, 1
	v_add3_u32 v4, v41, v4, s6
                                        ; implicit-def: $vgpr41
; %bb.13:                               ;   in Loop: Header=BB2_3 Depth=1
	s_andn2_saveexec_b64 s[34:35], s[0:1]
; %bb.14:                               ;   in Loop: Header=BB2_3 Depth=1
	v_or_b32_e32 v4, 0x10000, v41
	v_cmp_eq_u32_sdwa s[0:1], v41, v36 src0_sel:WORD_0 src1_sel:DWORD
	v_cndmask_b32_e64 v4, v4, v41, s[0:1]
; %bb.15:                               ;   in Loop: Header=BB2_3 Depth=1
	s_or_b64 exec, exec, s[34:35]
	v_and_b32_e32 v40, 0xffff0000, v40
	v_add_f32_e32 v41, 0xc3080000, v40
	v_and_b32_e32 v40, 0x7f800000, v41
	v_cmp_ne_u32_e64 s[0:1], s5, v40
                                        ; implicit-def: $vgpr40
	s_and_saveexec_b64 s[34:35], s[0:1]
	s_xor_b64 s[0:1], exec, s[34:35]
; %bb.16:                               ;   in Loop: Header=BB2_3 Depth=1
	v_bfe_u32 v40, v41, 16, 1
	v_add3_u32 v40, v41, v40, s6
                                        ; implicit-def: $vgpr41
; %bb.17:                               ;   in Loop: Header=BB2_3 Depth=1
	s_andn2_saveexec_b64 s[34:35], s[0:1]
; %bb.18:                               ;   in Loop: Header=BB2_3 Depth=1
	v_or_b32_e32 v40, 0x10000, v41
	v_cmp_eq_u32_sdwa s[0:1], v41, v36 src0_sel:WORD_0 src1_sel:DWORD
	v_cndmask_b32_e64 v40, v40, v41, s[0:1]
; %bb.19:                               ;   in Loop: Header=BB2_3 Depth=1
	s_or_b64 exec, exec, s[34:35]
	v_lshlrev_b32_e32 v41, 16, v42
	v_add_f32_e32 v43, 0xc3080000, v41
	v_and_b32_e32 v41, 0x7f800000, v43
	v_cmp_ne_u32_e64 s[0:1], s5, v41
                                        ; implicit-def: $vgpr41
	s_and_saveexec_b64 s[34:35], s[0:1]
	s_xor_b64 s[0:1], exec, s[34:35]
; %bb.20:                               ;   in Loop: Header=BB2_3 Depth=1
	v_bfe_u32 v41, v43, 16, 1
	v_add3_u32 v41, v43, v41, s6
                                        ; implicit-def: $vgpr43
; %bb.21:                               ;   in Loop: Header=BB2_3 Depth=1
	s_andn2_saveexec_b64 s[34:35], s[0:1]
; %bb.22:                               ;   in Loop: Header=BB2_3 Depth=1
	v_or_b32_e32 v41, 0x10000, v43
	v_cmp_eq_u32_sdwa s[0:1], v43, v36 src0_sel:WORD_0 src1_sel:DWORD
	v_cndmask_b32_e64 v41, v41, v43, s[0:1]
; %bb.23:                               ;   in Loop: Header=BB2_3 Depth=1
	s_or_b64 exec, exec, s[34:35]
	v_and_b32_e32 v42, 0xffff0000, v42
	v_add_f32_e32 v43, 0xc3080000, v42
	v_and_b32_e32 v42, 0x7f800000, v43
	v_cmp_ne_u32_e64 s[0:1], s5, v42
                                        ; implicit-def: $vgpr42
	s_and_saveexec_b64 s[34:35], s[0:1]
	s_xor_b64 s[0:1], exec, s[34:35]
; %bb.24:                               ;   in Loop: Header=BB2_3 Depth=1
	v_bfe_u32 v42, v43, 16, 1
	v_add3_u32 v42, v43, v42, s6
                                        ; implicit-def: $vgpr43
; %bb.25:                               ;   in Loop: Header=BB2_3 Depth=1
	s_andn2_saveexec_b64 s[34:35], s[0:1]
; %bb.26:                               ;   in Loop: Header=BB2_3 Depth=1
	v_or_b32_e32 v42, 0x10000, v43
	v_cmp_eq_u32_sdwa s[0:1], v43, v36 src0_sel:WORD_0 src1_sel:DWORD
	v_cndmask_b32_e64 v42, v42, v43, s[0:1]
; %bb.27:                               ;   in Loop: Header=BB2_3 Depth=1
	s_or_b64 exec, exec, s[34:35]
	v_lshlrev_b32_e32 v43, 16, v44
	v_add_f32_e32 v45, 0xc3080000, v43
	v_and_b32_e32 v43, 0x7f800000, v45
	v_cmp_ne_u32_e64 s[0:1], s5, v43
                                        ; implicit-def: $vgpr43
	s_and_saveexec_b64 s[34:35], s[0:1]
	s_xor_b64 s[0:1], exec, s[34:35]
; %bb.28:                               ;   in Loop: Header=BB2_3 Depth=1
	v_bfe_u32 v43, v45, 16, 1
	v_add3_u32 v43, v45, v43, s6
                                        ; implicit-def: $vgpr45
; %bb.29:                               ;   in Loop: Header=BB2_3 Depth=1
	s_andn2_saveexec_b64 s[34:35], s[0:1]
; %bb.30:                               ;   in Loop: Header=BB2_3 Depth=1
	v_or_b32_e32 v43, 0x10000, v45
	v_cmp_eq_u32_sdwa s[0:1], v45, v36 src0_sel:WORD_0 src1_sel:DWORD
	v_cndmask_b32_e64 v43, v43, v45, s[0:1]
; %bb.31:                               ;   in Loop: Header=BB2_3 Depth=1
	s_or_b64 exec, exec, s[34:35]
	v_and_b32_e32 v44, 0xffff0000, v44
	v_add_f32_e32 v45, 0xc3080000, v44
	v_and_b32_e32 v44, 0x7f800000, v45
	v_cmp_ne_u32_e64 s[0:1], s5, v44
                                        ; implicit-def: $vgpr44
	s_and_saveexec_b64 s[34:35], s[0:1]
	s_xor_b64 s[0:1], exec, s[34:35]
; %bb.32:                               ;   in Loop: Header=BB2_3 Depth=1
	v_bfe_u32 v44, v45, 16, 1
	v_add3_u32 v44, v45, v44, s6
                                        ; implicit-def: $vgpr45
; %bb.33:                               ;   in Loop: Header=BB2_3 Depth=1
	s_andn2_saveexec_b64 s[34:35], s[0:1]
; %bb.34:                               ;   in Loop: Header=BB2_3 Depth=1
	v_or_b32_e32 v44, 0x10000, v45
	v_cmp_eq_u32_sdwa s[0:1], v45, v36 src0_sel:WORD_0 src1_sel:DWORD
	v_cndmask_b32_e64 v44, v44, v45, s[0:1]
; %bb.35:                               ;   in Loop: Header=BB2_3 Depth=1
	s_or_b64 exec, exec, s[34:35]
	v_lshlrev_b32_e32 v45, 16, v48
	v_add_f32_e32 v49, 0xc3080000, v45
	v_and_b32_e32 v45, 0x7f800000, v49
	v_cmp_ne_u32_e64 s[0:1], s5, v45
                                        ; implicit-def: $vgpr45
	s_and_saveexec_b64 s[34:35], s[0:1]
	s_xor_b64 s[0:1], exec, s[34:35]
; %bb.36:                               ;   in Loop: Header=BB2_3 Depth=1
	v_bfe_u32 v45, v49, 16, 1
	v_add3_u32 v45, v49, v45, s6
                                        ; implicit-def: $vgpr49
; %bb.37:                               ;   in Loop: Header=BB2_3 Depth=1
	s_andn2_saveexec_b64 s[34:35], s[0:1]
; %bb.38:                               ;   in Loop: Header=BB2_3 Depth=1
	v_or_b32_e32 v45, 0x10000, v49
	v_cmp_eq_u32_sdwa s[0:1], v49, v36 src0_sel:WORD_0 src1_sel:DWORD
	v_cndmask_b32_e64 v45, v45, v49, s[0:1]
; %bb.39:                               ;   in Loop: Header=BB2_3 Depth=1
	s_or_b64 exec, exec, s[34:35]
	v_and_b32_e32 v48, 0xffff0000, v48
	v_add_f32_e32 v48, 0xc3080000, v48
	v_and_b32_e32 v49, 0x7f800000, v48
	v_cmp_ne_u32_e64 s[0:1], s5, v49
                                        ; implicit-def: $vgpr49
	s_and_saveexec_b64 s[34:35], s[0:1]
	s_xor_b64 s[0:1], exec, s[34:35]
; %bb.40:                               ;   in Loop: Header=BB2_3 Depth=1
	v_bfe_u32 v49, v48, 16, 1
	v_add3_u32 v49, v48, v49, s6
                                        ; implicit-def: $vgpr48
; %bb.41:                               ;   in Loop: Header=BB2_3 Depth=1
	s_andn2_saveexec_b64 s[34:35], s[0:1]
; %bb.42:                               ;   in Loop: Header=BB2_3 Depth=1
	v_or_b32_e32 v49, 0x10000, v48
	v_cmp_eq_u32_sdwa s[0:1], v48, v36 src0_sel:WORD_0 src1_sel:DWORD
	v_cndmask_b32_e64 v49, v49, v48, s[0:1]
; %bb.43:                               ;   in Loop: Header=BB2_3 Depth=1
	s_or_b64 exec, exec, s[34:35]
	v_and_b32_e32 v4, 0xffff0000, v4
	s_waitcnt vmcnt(3)
	v_lshlrev_b32_e32 v50, 16, v39
	v_and_b32_e32 v48, 0xffff0000, v39
	v_fma_f32 v39, v4, v50, v48
	v_and_b32_e32 v4, 0x7f800000, v39
	v_cmp_ne_u32_e64 s[0:1], s5, v4
                                        ; implicit-def: $vgpr4
	s_and_saveexec_b64 s[34:35], s[0:1]
	s_xor_b64 s[0:1], exec, s[34:35]
; %bb.44:                               ;   in Loop: Header=BB2_3 Depth=1
	v_bfe_u32 v4, v39, 16, 1
	v_add3_u32 v4, v39, v4, s6
                                        ; implicit-def: $vgpr39
; %bb.45:                               ;   in Loop: Header=BB2_3 Depth=1
	s_andn2_saveexec_b64 s[34:35], s[0:1]
; %bb.46:                               ;   in Loop: Header=BB2_3 Depth=1
	v_or_b32_e32 v4, 0x10000, v39
	v_cmp_eq_u32_sdwa s[0:1], v39, v36 src0_sel:WORD_0 src1_sel:DWORD
	v_cndmask_b32_e64 v4, v4, v39, s[0:1]
; %bb.47:                               ;   in Loop: Header=BB2_3 Depth=1
	s_or_b64 exec, exec, s[34:35]
	v_and_b32_e32 v39, 0xffff0000, v40
	v_fma_f32 v40, v39, v50, v48
	v_and_b32_e32 v39, 0x7f800000, v40
	v_cmp_ne_u32_e64 s[0:1], s5, v39
                                        ; implicit-def: $vgpr39
	s_and_saveexec_b64 s[34:35], s[0:1]
	s_xor_b64 s[0:1], exec, s[34:35]
; %bb.48:                               ;   in Loop: Header=BB2_3 Depth=1
	v_bfe_u32 v39, v40, 16, 1
	v_add3_u32 v39, v40, v39, s6
                                        ; implicit-def: $vgpr40
; %bb.49:                               ;   in Loop: Header=BB2_3 Depth=1
	s_andn2_saveexec_b64 s[34:35], s[0:1]
; %bb.50:                               ;   in Loop: Header=BB2_3 Depth=1
	v_or_b32_e32 v39, 0x10000, v40
	v_cmp_eq_u32_sdwa s[0:1], v40, v36 src0_sel:WORD_0 src1_sel:DWORD
	v_cndmask_b32_e64 v39, v39, v40, s[0:1]
; %bb.51:                               ;   in Loop: Header=BB2_3 Depth=1
	s_or_b64 exec, exec, s[34:35]
	v_and_b32_e32 v40, 0xffff0000, v41
	v_fma_f32 v41, v40, v50, v48
	v_and_b32_e32 v40, 0x7f800000, v41
	v_cmp_ne_u32_e64 s[0:1], s5, v40
                                        ; implicit-def: $vgpr40
	s_and_saveexec_b64 s[34:35], s[0:1]
	s_xor_b64 s[0:1], exec, s[34:35]
; %bb.52:                               ;   in Loop: Header=BB2_3 Depth=1
	v_bfe_u32 v40, v41, 16, 1
	v_add3_u32 v40, v41, v40, s6
                                        ; implicit-def: $vgpr41
; %bb.53:                               ;   in Loop: Header=BB2_3 Depth=1
	s_andn2_saveexec_b64 s[34:35], s[0:1]
; %bb.54:                               ;   in Loop: Header=BB2_3 Depth=1
	v_or_b32_e32 v40, 0x10000, v41
	v_cmp_eq_u32_sdwa s[0:1], v41, v36 src0_sel:WORD_0 src1_sel:DWORD
	v_cndmask_b32_e64 v40, v40, v41, s[0:1]
; %bb.55:                               ;   in Loop: Header=BB2_3 Depth=1
	s_or_b64 exec, exec, s[34:35]
	v_and_b32_e32 v41, 0xffff0000, v42
	v_fma_f32 v42, v41, v50, v48
	v_and_b32_e32 v41, 0x7f800000, v42
	v_cmp_ne_u32_e64 s[0:1], s5, v41
                                        ; implicit-def: $vgpr41
	s_and_saveexec_b64 s[34:35], s[0:1]
	s_xor_b64 s[0:1], exec, s[34:35]
; %bb.56:                               ;   in Loop: Header=BB2_3 Depth=1
	v_bfe_u32 v41, v42, 16, 1
	v_add3_u32 v41, v42, v41, s6
                                        ; implicit-def: $vgpr42
; %bb.57:                               ;   in Loop: Header=BB2_3 Depth=1
	s_andn2_saveexec_b64 s[34:35], s[0:1]
; %bb.58:                               ;   in Loop: Header=BB2_3 Depth=1
	v_or_b32_e32 v41, 0x10000, v42
	v_cmp_eq_u32_sdwa s[0:1], v42, v36 src0_sel:WORD_0 src1_sel:DWORD
	v_cndmask_b32_e64 v41, v41, v42, s[0:1]
; %bb.59:                               ;   in Loop: Header=BB2_3 Depth=1
	s_or_b64 exec, exec, s[34:35]
	v_and_b32_e32 v42, 0xffff0000, v43
	v_fma_f32 v43, v42, v50, v48
	v_and_b32_e32 v42, 0x7f800000, v43
	v_cmp_ne_u32_e64 s[0:1], s5, v42
                                        ; implicit-def: $vgpr42
	s_and_saveexec_b64 s[34:35], s[0:1]
	s_xor_b64 s[0:1], exec, s[34:35]
; %bb.60:                               ;   in Loop: Header=BB2_3 Depth=1
	v_bfe_u32 v42, v43, 16, 1
	v_add3_u32 v42, v43, v42, s6
                                        ; implicit-def: $vgpr43
; %bb.61:                               ;   in Loop: Header=BB2_3 Depth=1
	s_andn2_saveexec_b64 s[34:35], s[0:1]
; %bb.62:                               ;   in Loop: Header=BB2_3 Depth=1
	v_or_b32_e32 v42, 0x10000, v43
	v_cmp_eq_u32_sdwa s[0:1], v43, v36 src0_sel:WORD_0 src1_sel:DWORD
	v_cndmask_b32_e64 v42, v42, v43, s[0:1]
; %bb.63:                               ;   in Loop: Header=BB2_3 Depth=1
	s_or_b64 exec, exec, s[34:35]
	v_and_b32_e32 v43, 0xffff0000, v44
	v_fma_f32 v44, v43, v50, v48
	v_and_b32_e32 v43, 0x7f800000, v44
	v_cmp_ne_u32_e64 s[0:1], s5, v43
                                        ; implicit-def: $vgpr43
	s_and_saveexec_b64 s[34:35], s[0:1]
	s_xor_b64 s[0:1], exec, s[34:35]
; %bb.64:                               ;   in Loop: Header=BB2_3 Depth=1
	v_bfe_u32 v43, v44, 16, 1
	v_add3_u32 v43, v44, v43, s6
                                        ; implicit-def: $vgpr44
; %bb.65:                               ;   in Loop: Header=BB2_3 Depth=1
	s_andn2_saveexec_b64 s[34:35], s[0:1]
; %bb.66:                               ;   in Loop: Header=BB2_3 Depth=1
	v_or_b32_e32 v43, 0x10000, v44
	v_cmp_eq_u32_sdwa s[0:1], v44, v36 src0_sel:WORD_0 src1_sel:DWORD
	v_cndmask_b32_e64 v43, v43, v44, s[0:1]
; %bb.67:                               ;   in Loop: Header=BB2_3 Depth=1
	s_or_b64 exec, exec, s[34:35]
	v_and_b32_e32 v44, 0xffff0000, v45
	v_fma_f32 v45, v44, v50, v48
	v_and_b32_e32 v44, 0x7f800000, v45
	v_cmp_ne_u32_e64 s[0:1], s5, v44
                                        ; implicit-def: $vgpr44
	s_and_saveexec_b64 s[34:35], s[0:1]
	s_xor_b64 s[0:1], exec, s[34:35]
; %bb.68:                               ;   in Loop: Header=BB2_3 Depth=1
	v_bfe_u32 v44, v45, 16, 1
	v_add3_u32 v44, v45, v44, s6
                                        ; implicit-def: $vgpr45
; %bb.69:                               ;   in Loop: Header=BB2_3 Depth=1
	s_andn2_saveexec_b64 s[34:35], s[0:1]
; %bb.70:                               ;   in Loop: Header=BB2_3 Depth=1
	v_or_b32_e32 v44, 0x10000, v45
	v_cmp_eq_u32_sdwa s[0:1], v45, v36 src0_sel:WORD_0 src1_sel:DWORD
	v_cndmask_b32_e64 v44, v44, v45, s[0:1]
; %bb.71:                               ;   in Loop: Header=BB2_3 Depth=1
	s_or_b64 exec, exec, s[34:35]
	v_and_b32_e32 v45, 0xffff0000, v49
	v_fmac_f32_e32 v48, v45, v50
	v_and_b32_e32 v45, 0x7f800000, v48
	v_cmp_ne_u32_e64 s[0:1], s5, v45
                                        ; implicit-def: $vgpr45
	s_and_saveexec_b64 s[34:35], s[0:1]
	s_xor_b64 s[0:1], exec, s[34:35]
; %bb.72:                               ;   in Loop: Header=BB2_3 Depth=1
	v_bfe_u32 v45, v48, 16, 1
	v_add3_u32 v45, v48, v45, s6
                                        ; implicit-def: $vgpr48
; %bb.73:                               ;   in Loop: Header=BB2_3 Depth=1
	s_andn2_saveexec_b64 s[34:35], s[0:1]
; %bb.74:                               ;   in Loop: Header=BB2_3 Depth=1
	v_or_b32_e32 v45, 0x10000, v48
	v_cmp_eq_u32_sdwa s[0:1], v48, v36 src0_sel:WORD_0 src1_sel:DWORD
	v_cndmask_b32_e64 v45, v45, v48, s[0:1]
; %bb.75:                               ;   in Loop: Header=BB2_3 Depth=1
	s_or_b64 exec, exec, s[34:35]
	v_lshrrev_b32_e32 v49, 4, v5
	;;#ASMSTART
	v_and_or_b32 v48, v5, v37, v38
	;;#ASMEND
	;;#ASMSTART
	v_and_or_b32 v50, v49, v37, v38
	;;#ASMEND
	v_lshrrev_b32_e32 v49, 8, v5
	v_lshrrev_b32_e32 v5, 12, v5
	;;#ASMSTART
	v_and_or_b32 v52, v49, v37, v38
	;;#ASMEND
	;;#ASMSTART
	v_and_or_b32 v54, v5, v37, v38
	;;#ASMEND
	v_lshlrev_b32_e32 v5, 16, v48
	v_add_f32_e32 v49, 0xc3080000, v5
	v_and_b32_e32 v5, 0x7f800000, v49
	v_cmp_ne_u32_e64 s[0:1], s5, v5
                                        ; implicit-def: $vgpr5
	s_and_saveexec_b64 s[34:35], s[0:1]
	s_xor_b64 s[0:1], exec, s[34:35]
; %bb.76:                               ;   in Loop: Header=BB2_3 Depth=1
	v_bfe_u32 v5, v49, 16, 1
	v_add3_u32 v5, v49, v5, s6
                                        ; implicit-def: $vgpr49
; %bb.77:                               ;   in Loop: Header=BB2_3 Depth=1
	s_andn2_saveexec_b64 s[34:35], s[0:1]
; %bb.78:                               ;   in Loop: Header=BB2_3 Depth=1
	v_or_b32_e32 v5, 0x10000, v49
	v_cmp_eq_u32_sdwa s[0:1], v49, v36 src0_sel:WORD_0 src1_sel:DWORD
	v_cndmask_b32_e64 v5, v5, v49, s[0:1]
; %bb.79:                               ;   in Loop: Header=BB2_3 Depth=1
	s_or_b64 exec, exec, s[34:35]
	v_and_b32_e32 v48, 0xffff0000, v48
	v_add_f32_e32 v49, 0xc3080000, v48
	v_and_b32_e32 v48, 0x7f800000, v49
	v_cmp_ne_u32_e64 s[0:1], s5, v48
                                        ; implicit-def: $vgpr48
	s_and_saveexec_b64 s[34:35], s[0:1]
	s_xor_b64 s[0:1], exec, s[34:35]
; %bb.80:                               ;   in Loop: Header=BB2_3 Depth=1
	v_bfe_u32 v48, v49, 16, 1
	v_add3_u32 v48, v49, v48, s6
                                        ; implicit-def: $vgpr49
; %bb.81:                               ;   in Loop: Header=BB2_3 Depth=1
	s_andn2_saveexec_b64 s[34:35], s[0:1]
; %bb.82:                               ;   in Loop: Header=BB2_3 Depth=1
	v_or_b32_e32 v48, 0x10000, v49
	v_cmp_eq_u32_sdwa s[0:1], v49, v36 src0_sel:WORD_0 src1_sel:DWORD
	v_cndmask_b32_e64 v48, v48, v49, s[0:1]
; %bb.83:                               ;   in Loop: Header=BB2_3 Depth=1
	s_or_b64 exec, exec, s[34:35]
	v_lshlrev_b32_e32 v49, 16, v50
	v_add_f32_e32 v51, 0xc3080000, v49
	v_and_b32_e32 v49, 0x7f800000, v51
	v_cmp_ne_u32_e64 s[0:1], s5, v49
                                        ; implicit-def: $vgpr49
	s_and_saveexec_b64 s[34:35], s[0:1]
	s_xor_b64 s[0:1], exec, s[34:35]
; %bb.84:                               ;   in Loop: Header=BB2_3 Depth=1
	v_bfe_u32 v49, v51, 16, 1
	v_add3_u32 v49, v51, v49, s6
                                        ; implicit-def: $vgpr51
; %bb.85:                               ;   in Loop: Header=BB2_3 Depth=1
	s_andn2_saveexec_b64 s[34:35], s[0:1]
; %bb.86:                               ;   in Loop: Header=BB2_3 Depth=1
	v_or_b32_e32 v49, 0x10000, v51
	v_cmp_eq_u32_sdwa s[0:1], v51, v36 src0_sel:WORD_0 src1_sel:DWORD
	v_cndmask_b32_e64 v49, v49, v51, s[0:1]
; %bb.87:                               ;   in Loop: Header=BB2_3 Depth=1
	s_or_b64 exec, exec, s[34:35]
	v_and_b32_e32 v50, 0xffff0000, v50
	v_add_f32_e32 v51, 0xc3080000, v50
	v_and_b32_e32 v50, 0x7f800000, v51
	v_cmp_ne_u32_e64 s[0:1], s5, v50
                                        ; implicit-def: $vgpr50
	s_and_saveexec_b64 s[34:35], s[0:1]
	s_xor_b64 s[0:1], exec, s[34:35]
; %bb.88:                               ;   in Loop: Header=BB2_3 Depth=1
	v_bfe_u32 v50, v51, 16, 1
	v_add3_u32 v50, v51, v50, s6
                                        ; implicit-def: $vgpr51
; %bb.89:                               ;   in Loop: Header=BB2_3 Depth=1
	s_andn2_saveexec_b64 s[34:35], s[0:1]
; %bb.90:                               ;   in Loop: Header=BB2_3 Depth=1
	v_or_b32_e32 v50, 0x10000, v51
	v_cmp_eq_u32_sdwa s[0:1], v51, v36 src0_sel:WORD_0 src1_sel:DWORD
	v_cndmask_b32_e64 v50, v50, v51, s[0:1]
; %bb.91:                               ;   in Loop: Header=BB2_3 Depth=1
	s_or_b64 exec, exec, s[34:35]
	v_lshlrev_b32_e32 v51, 16, v52
	v_add_f32_e32 v53, 0xc3080000, v51
	v_and_b32_e32 v51, 0x7f800000, v53
	v_cmp_ne_u32_e64 s[0:1], s5, v51
                                        ; implicit-def: $vgpr51
	s_and_saveexec_b64 s[34:35], s[0:1]
	s_xor_b64 s[0:1], exec, s[34:35]
; %bb.92:                               ;   in Loop: Header=BB2_3 Depth=1
	v_bfe_u32 v51, v53, 16, 1
	v_add3_u32 v51, v53, v51, s6
                                        ; implicit-def: $vgpr53
; %bb.93:                               ;   in Loop: Header=BB2_3 Depth=1
	s_andn2_saveexec_b64 s[34:35], s[0:1]
; %bb.94:                               ;   in Loop: Header=BB2_3 Depth=1
	v_or_b32_e32 v51, 0x10000, v53
	v_cmp_eq_u32_sdwa s[0:1], v53, v36 src0_sel:WORD_0 src1_sel:DWORD
	v_cndmask_b32_e64 v51, v51, v53, s[0:1]
; %bb.95:                               ;   in Loop: Header=BB2_3 Depth=1
	s_or_b64 exec, exec, s[34:35]
	v_and_b32_e32 v52, 0xffff0000, v52
	v_add_f32_e32 v53, 0xc3080000, v52
	v_and_b32_e32 v52, 0x7f800000, v53
	v_cmp_ne_u32_e64 s[0:1], s5, v52
                                        ; implicit-def: $vgpr52
	s_and_saveexec_b64 s[34:35], s[0:1]
	s_xor_b64 s[0:1], exec, s[34:35]
; %bb.96:                               ;   in Loop: Header=BB2_3 Depth=1
	v_bfe_u32 v52, v53, 16, 1
	v_add3_u32 v52, v53, v52, s6
                                        ; implicit-def: $vgpr53
; %bb.97:                               ;   in Loop: Header=BB2_3 Depth=1
	s_andn2_saveexec_b64 s[34:35], s[0:1]
; %bb.98:                               ;   in Loop: Header=BB2_3 Depth=1
	v_or_b32_e32 v52, 0x10000, v53
	v_cmp_eq_u32_sdwa s[0:1], v53, v36 src0_sel:WORD_0 src1_sel:DWORD
	v_cndmask_b32_e64 v52, v52, v53, s[0:1]
; %bb.99:                               ;   in Loop: Header=BB2_3 Depth=1
	s_or_b64 exec, exec, s[34:35]
	v_lshlrev_b32_e32 v53, 16, v54
	v_add_f32_e32 v55, 0xc3080000, v53
	v_and_b32_e32 v53, 0x7f800000, v55
	v_cmp_ne_u32_e64 s[0:1], s5, v53
                                        ; implicit-def: $vgpr53
	s_and_saveexec_b64 s[34:35], s[0:1]
	s_xor_b64 s[0:1], exec, s[34:35]
; %bb.100:                              ;   in Loop: Header=BB2_3 Depth=1
	v_bfe_u32 v53, v55, 16, 1
	v_add3_u32 v53, v55, v53, s6
                                        ; implicit-def: $vgpr55
; %bb.101:                              ;   in Loop: Header=BB2_3 Depth=1
	s_andn2_saveexec_b64 s[34:35], s[0:1]
; %bb.102:                              ;   in Loop: Header=BB2_3 Depth=1
	v_or_b32_e32 v53, 0x10000, v55
	v_cmp_eq_u32_sdwa s[0:1], v55, v36 src0_sel:WORD_0 src1_sel:DWORD
	v_cndmask_b32_e64 v53, v53, v55, s[0:1]
; %bb.103:                              ;   in Loop: Header=BB2_3 Depth=1
	s_or_b64 exec, exec, s[34:35]
	v_and_b32_e32 v54, 0xffff0000, v54
	v_add_f32_e32 v54, 0xc3080000, v54
	v_and_b32_e32 v55, 0x7f800000, v54
	v_cmp_ne_u32_e64 s[0:1], s5, v55
                                        ; implicit-def: $vgpr55
	s_and_saveexec_b64 s[34:35], s[0:1]
	s_xor_b64 s[0:1], exec, s[34:35]
; %bb.104:                              ;   in Loop: Header=BB2_3 Depth=1
	v_bfe_u32 v55, v54, 16, 1
	v_add3_u32 v55, v54, v55, s6
                                        ; implicit-def: $vgpr54
; %bb.105:                              ;   in Loop: Header=BB2_3 Depth=1
	s_andn2_saveexec_b64 s[34:35], s[0:1]
; %bb.106:                              ;   in Loop: Header=BB2_3 Depth=1
	v_or_b32_e32 v55, 0x10000, v54
	v_cmp_eq_u32_sdwa s[0:1], v54, v36 src0_sel:WORD_0 src1_sel:DWORD
	v_cndmask_b32_e64 v55, v55, v54, s[0:1]
; %bb.107:                              ;   in Loop: Header=BB2_3 Depth=1
	s_or_b64 exec, exec, s[34:35]
	v_and_b32_e32 v5, 0xffff0000, v5
	s_waitcnt vmcnt(2)
	v_lshlrev_b32_e32 v56, 16, v47
	v_and_b32_e32 v54, 0xffff0000, v47
	v_fma_f32 v47, v5, v56, v54
	v_and_b32_e32 v5, 0x7f800000, v47
	v_cmp_ne_u32_e64 s[0:1], s5, v5
                                        ; implicit-def: $vgpr5
	s_and_saveexec_b64 s[34:35], s[0:1]
	s_xor_b64 s[0:1], exec, s[34:35]
; %bb.108:                              ;   in Loop: Header=BB2_3 Depth=1
	v_bfe_u32 v5, v47, 16, 1
	v_add3_u32 v5, v47, v5, s6
                                        ; implicit-def: $vgpr47
; %bb.109:                              ;   in Loop: Header=BB2_3 Depth=1
	s_andn2_saveexec_b64 s[34:35], s[0:1]
; %bb.110:                              ;   in Loop: Header=BB2_3 Depth=1
	v_or_b32_e32 v5, 0x10000, v47
	v_cmp_eq_u32_sdwa s[0:1], v47, v36 src0_sel:WORD_0 src1_sel:DWORD
	v_cndmask_b32_e64 v5, v5, v47, s[0:1]
; %bb.111:                              ;   in Loop: Header=BB2_3 Depth=1
	s_or_b64 exec, exec, s[34:35]
	v_and_b32_e32 v47, 0xffff0000, v48
	v_fma_f32 v48, v47, v56, v54
	v_and_b32_e32 v47, 0x7f800000, v48
	v_cmp_ne_u32_e64 s[0:1], s5, v47
                                        ; implicit-def: $vgpr47
	s_and_saveexec_b64 s[34:35], s[0:1]
	s_xor_b64 s[0:1], exec, s[34:35]
; %bb.112:                              ;   in Loop: Header=BB2_3 Depth=1
	v_bfe_u32 v47, v48, 16, 1
	v_add3_u32 v47, v48, v47, s6
                                        ; implicit-def: $vgpr48
; %bb.113:                              ;   in Loop: Header=BB2_3 Depth=1
	s_andn2_saveexec_b64 s[34:35], s[0:1]
; %bb.114:                              ;   in Loop: Header=BB2_3 Depth=1
	v_or_b32_e32 v47, 0x10000, v48
	v_cmp_eq_u32_sdwa s[0:1], v48, v36 src0_sel:WORD_0 src1_sel:DWORD
	v_cndmask_b32_e64 v47, v47, v48, s[0:1]
; %bb.115:                              ;   in Loop: Header=BB2_3 Depth=1
	s_or_b64 exec, exec, s[34:35]
	v_and_b32_e32 v48, 0xffff0000, v49
	v_fma_f32 v49, v48, v56, v54
	v_and_b32_e32 v48, 0x7f800000, v49
	v_cmp_ne_u32_e64 s[0:1], s5, v48
                                        ; implicit-def: $vgpr48
	s_and_saveexec_b64 s[34:35], s[0:1]
	s_xor_b64 s[0:1], exec, s[34:35]
; %bb.116:                              ;   in Loop: Header=BB2_3 Depth=1
	v_bfe_u32 v48, v49, 16, 1
	v_add3_u32 v48, v49, v48, s6
                                        ; implicit-def: $vgpr49
; %bb.117:                              ;   in Loop: Header=BB2_3 Depth=1
	s_andn2_saveexec_b64 s[34:35], s[0:1]
; %bb.118:                              ;   in Loop: Header=BB2_3 Depth=1
	v_or_b32_e32 v48, 0x10000, v49
	v_cmp_eq_u32_sdwa s[0:1], v49, v36 src0_sel:WORD_0 src1_sel:DWORD
	v_cndmask_b32_e64 v48, v48, v49, s[0:1]
; %bb.119:                              ;   in Loop: Header=BB2_3 Depth=1
	s_or_b64 exec, exec, s[34:35]
	v_and_b32_e32 v49, 0xffff0000, v50
	v_fma_f32 v50, v49, v56, v54
	v_and_b32_e32 v49, 0x7f800000, v50
	v_cmp_ne_u32_e64 s[0:1], s5, v49
                                        ; implicit-def: $vgpr49
	s_and_saveexec_b64 s[34:35], s[0:1]
	s_xor_b64 s[0:1], exec, s[34:35]
; %bb.120:                              ;   in Loop: Header=BB2_3 Depth=1
	v_bfe_u32 v49, v50, 16, 1
	v_add3_u32 v49, v50, v49, s6
                                        ; implicit-def: $vgpr50
; %bb.121:                              ;   in Loop: Header=BB2_3 Depth=1
	s_andn2_saveexec_b64 s[34:35], s[0:1]
; %bb.122:                              ;   in Loop: Header=BB2_3 Depth=1
	v_or_b32_e32 v49, 0x10000, v50
	v_cmp_eq_u32_sdwa s[0:1], v50, v36 src0_sel:WORD_0 src1_sel:DWORD
	v_cndmask_b32_e64 v49, v49, v50, s[0:1]
; %bb.123:                              ;   in Loop: Header=BB2_3 Depth=1
	s_or_b64 exec, exec, s[34:35]
	v_and_b32_e32 v50, 0xffff0000, v51
	v_fma_f32 v51, v50, v56, v54
	v_and_b32_e32 v50, 0x7f800000, v51
	v_cmp_ne_u32_e64 s[0:1], s5, v50
                                        ; implicit-def: $vgpr50
	s_and_saveexec_b64 s[34:35], s[0:1]
	s_xor_b64 s[0:1], exec, s[34:35]
; %bb.124:                              ;   in Loop: Header=BB2_3 Depth=1
	v_bfe_u32 v50, v51, 16, 1
	v_add3_u32 v50, v51, v50, s6
                                        ; implicit-def: $vgpr51
; %bb.125:                              ;   in Loop: Header=BB2_3 Depth=1
	s_andn2_saveexec_b64 s[34:35], s[0:1]
; %bb.126:                              ;   in Loop: Header=BB2_3 Depth=1
	v_or_b32_e32 v50, 0x10000, v51
	v_cmp_eq_u32_sdwa s[0:1], v51, v36 src0_sel:WORD_0 src1_sel:DWORD
	v_cndmask_b32_e64 v50, v50, v51, s[0:1]
; %bb.127:                              ;   in Loop: Header=BB2_3 Depth=1
	s_or_b64 exec, exec, s[34:35]
	v_and_b32_e32 v51, 0xffff0000, v52
	v_fma_f32 v52, v51, v56, v54
	v_and_b32_e32 v51, 0x7f800000, v52
	v_cmp_ne_u32_e64 s[0:1], s5, v51
                                        ; implicit-def: $vgpr51
	s_and_saveexec_b64 s[34:35], s[0:1]
	s_xor_b64 s[0:1], exec, s[34:35]
; %bb.128:                              ;   in Loop: Header=BB2_3 Depth=1
	v_bfe_u32 v51, v52, 16, 1
	v_add3_u32 v51, v52, v51, s6
                                        ; implicit-def: $vgpr52
; %bb.129:                              ;   in Loop: Header=BB2_3 Depth=1
	s_andn2_saveexec_b64 s[34:35], s[0:1]
; %bb.130:                              ;   in Loop: Header=BB2_3 Depth=1
	v_or_b32_e32 v51, 0x10000, v52
	v_cmp_eq_u32_sdwa s[0:1], v52, v36 src0_sel:WORD_0 src1_sel:DWORD
	v_cndmask_b32_e64 v51, v51, v52, s[0:1]
; %bb.131:                              ;   in Loop: Header=BB2_3 Depth=1
	s_or_b64 exec, exec, s[34:35]
	v_and_b32_e32 v52, 0xffff0000, v53
	v_fma_f32 v53, v52, v56, v54
	v_and_b32_e32 v52, 0x7f800000, v53
	v_cmp_ne_u32_e64 s[0:1], s5, v52
                                        ; implicit-def: $vgpr52
	s_and_saveexec_b64 s[34:35], s[0:1]
	s_xor_b64 s[0:1], exec, s[34:35]
; %bb.132:                              ;   in Loop: Header=BB2_3 Depth=1
	v_bfe_u32 v52, v53, 16, 1
	v_add3_u32 v52, v53, v52, s6
                                        ; implicit-def: $vgpr53
; %bb.133:                              ;   in Loop: Header=BB2_3 Depth=1
	s_andn2_saveexec_b64 s[34:35], s[0:1]
; %bb.134:                              ;   in Loop: Header=BB2_3 Depth=1
	v_or_b32_e32 v52, 0x10000, v53
	v_cmp_eq_u32_sdwa s[0:1], v53, v36 src0_sel:WORD_0 src1_sel:DWORD
	v_cndmask_b32_e64 v52, v52, v53, s[0:1]
; %bb.135:                              ;   in Loop: Header=BB2_3 Depth=1
	s_or_b64 exec, exec, s[34:35]
	v_and_b32_e32 v53, 0xffff0000, v55
	v_fmac_f32_e32 v54, v53, v56
	v_and_b32_e32 v53, 0x7f800000, v54
	v_cmp_ne_u32_e64 s[0:1], s5, v53
                                        ; implicit-def: $vgpr53
	s_and_saveexec_b64 s[34:35], s[0:1]
	s_xor_b64 s[0:1], exec, s[34:35]
; %bb.136:                              ;   in Loop: Header=BB2_3 Depth=1
	v_bfe_u32 v53, v54, 16, 1
	v_add3_u32 v53, v54, v53, s6
                                        ; implicit-def: $vgpr54
; %bb.137:                              ;   in Loop: Header=BB2_3 Depth=1
	s_andn2_saveexec_b64 s[34:35], s[0:1]
; %bb.138:                              ;   in Loop: Header=BB2_3 Depth=1
	v_or_b32_e32 v53, 0x10000, v54
	v_cmp_eq_u32_sdwa s[0:1], v54, v36 src0_sel:WORD_0 src1_sel:DWORD
	v_cndmask_b32_e64 v53, v53, v54, s[0:1]
; %bb.139:                              ;   in Loop: Header=BB2_3 Depth=1
	s_or_b64 exec, exec, s[34:35]
	v_lshrrev_b32_e32 v55, 4, v6
	;;#ASMSTART
	v_and_or_b32 v54, v6, v37, v38
	;;#ASMEND
	;;#ASMSTART
	v_and_or_b32 v56, v55, v37, v38
	;;#ASMEND
	v_lshrrev_b32_e32 v55, 8, v6
	v_lshrrev_b32_e32 v6, 12, v6
	;;#ASMSTART
	v_and_or_b32 v58, v55, v37, v38
	;;#ASMEND
	;;#ASMSTART
	v_and_or_b32 v60, v6, v37, v38
	;;#ASMEND
	v_lshlrev_b32_e32 v6, 16, v54
	v_add_f32_e32 v55, 0xc3080000, v6
	v_and_b32_e32 v6, 0x7f800000, v55
	v_cmp_ne_u32_e64 s[0:1], s5, v6
                                        ; implicit-def: $vgpr6
	s_and_saveexec_b64 s[34:35], s[0:1]
	s_xor_b64 s[0:1], exec, s[34:35]
; %bb.140:                              ;   in Loop: Header=BB2_3 Depth=1
	v_bfe_u32 v6, v55, 16, 1
	v_add3_u32 v6, v55, v6, s6
                                        ; implicit-def: $vgpr55
; %bb.141:                              ;   in Loop: Header=BB2_3 Depth=1
	s_andn2_saveexec_b64 s[34:35], s[0:1]
; %bb.142:                              ;   in Loop: Header=BB2_3 Depth=1
	v_or_b32_e32 v6, 0x10000, v55
	v_cmp_eq_u32_sdwa s[0:1], v55, v36 src0_sel:WORD_0 src1_sel:DWORD
	v_cndmask_b32_e64 v6, v6, v55, s[0:1]
; %bb.143:                              ;   in Loop: Header=BB2_3 Depth=1
	s_or_b64 exec, exec, s[34:35]
	v_and_b32_e32 v54, 0xffff0000, v54
	v_add_f32_e32 v55, 0xc3080000, v54
	v_and_b32_e32 v54, 0x7f800000, v55
	v_cmp_ne_u32_e64 s[0:1], s5, v54
                                        ; implicit-def: $vgpr54
	s_and_saveexec_b64 s[34:35], s[0:1]
	s_xor_b64 s[0:1], exec, s[34:35]
; %bb.144:                              ;   in Loop: Header=BB2_3 Depth=1
	v_bfe_u32 v54, v55, 16, 1
	v_add3_u32 v54, v55, v54, s6
                                        ; implicit-def: $vgpr55
; %bb.145:                              ;   in Loop: Header=BB2_3 Depth=1
	s_andn2_saveexec_b64 s[34:35], s[0:1]
; %bb.146:                              ;   in Loop: Header=BB2_3 Depth=1
	v_or_b32_e32 v54, 0x10000, v55
	v_cmp_eq_u32_sdwa s[0:1], v55, v36 src0_sel:WORD_0 src1_sel:DWORD
	v_cndmask_b32_e64 v54, v54, v55, s[0:1]
; %bb.147:                              ;   in Loop: Header=BB2_3 Depth=1
	s_or_b64 exec, exec, s[34:35]
	v_lshlrev_b32_e32 v55, 16, v56
	v_add_f32_e32 v57, 0xc3080000, v55
	v_and_b32_e32 v55, 0x7f800000, v57
	v_cmp_ne_u32_e64 s[0:1], s5, v55
                                        ; implicit-def: $vgpr55
	s_and_saveexec_b64 s[34:35], s[0:1]
	s_xor_b64 s[0:1], exec, s[34:35]
; %bb.148:                              ;   in Loop: Header=BB2_3 Depth=1
	v_bfe_u32 v55, v57, 16, 1
	v_add3_u32 v55, v57, v55, s6
                                        ; implicit-def: $vgpr57
; %bb.149:                              ;   in Loop: Header=BB2_3 Depth=1
	s_andn2_saveexec_b64 s[34:35], s[0:1]
; %bb.150:                              ;   in Loop: Header=BB2_3 Depth=1
	v_or_b32_e32 v55, 0x10000, v57
	v_cmp_eq_u32_sdwa s[0:1], v57, v36 src0_sel:WORD_0 src1_sel:DWORD
	v_cndmask_b32_e64 v55, v55, v57, s[0:1]
; %bb.151:                              ;   in Loop: Header=BB2_3 Depth=1
	s_or_b64 exec, exec, s[34:35]
	v_and_b32_e32 v56, 0xffff0000, v56
	v_add_f32_e32 v57, 0xc3080000, v56
	v_and_b32_e32 v56, 0x7f800000, v57
	v_cmp_ne_u32_e64 s[0:1], s5, v56
                                        ; implicit-def: $vgpr56
	s_and_saveexec_b64 s[34:35], s[0:1]
	s_xor_b64 s[0:1], exec, s[34:35]
; %bb.152:                              ;   in Loop: Header=BB2_3 Depth=1
	v_bfe_u32 v56, v57, 16, 1
	v_add3_u32 v56, v57, v56, s6
                                        ; implicit-def: $vgpr57
; %bb.153:                              ;   in Loop: Header=BB2_3 Depth=1
	s_andn2_saveexec_b64 s[34:35], s[0:1]
; %bb.154:                              ;   in Loop: Header=BB2_3 Depth=1
	v_or_b32_e32 v56, 0x10000, v57
	v_cmp_eq_u32_sdwa s[0:1], v57, v36 src0_sel:WORD_0 src1_sel:DWORD
	v_cndmask_b32_e64 v56, v56, v57, s[0:1]
; %bb.155:                              ;   in Loop: Header=BB2_3 Depth=1
	s_or_b64 exec, exec, s[34:35]
	v_lshlrev_b32_e32 v57, 16, v58
	v_add_f32_e32 v59, 0xc3080000, v57
	v_and_b32_e32 v57, 0x7f800000, v59
	v_cmp_ne_u32_e64 s[0:1], s5, v57
                                        ; implicit-def: $vgpr57
	s_and_saveexec_b64 s[34:35], s[0:1]
	s_xor_b64 s[0:1], exec, s[34:35]
; %bb.156:                              ;   in Loop: Header=BB2_3 Depth=1
	v_bfe_u32 v57, v59, 16, 1
	v_add3_u32 v57, v59, v57, s6
                                        ; implicit-def: $vgpr59
; %bb.157:                              ;   in Loop: Header=BB2_3 Depth=1
	s_andn2_saveexec_b64 s[34:35], s[0:1]
; %bb.158:                              ;   in Loop: Header=BB2_3 Depth=1
	v_or_b32_e32 v57, 0x10000, v59
	v_cmp_eq_u32_sdwa s[0:1], v59, v36 src0_sel:WORD_0 src1_sel:DWORD
	v_cndmask_b32_e64 v57, v57, v59, s[0:1]
; %bb.159:                              ;   in Loop: Header=BB2_3 Depth=1
	s_or_b64 exec, exec, s[34:35]
	v_and_b32_e32 v58, 0xffff0000, v58
	v_add_f32_e32 v59, 0xc3080000, v58
	v_and_b32_e32 v58, 0x7f800000, v59
	v_cmp_ne_u32_e64 s[0:1], s5, v58
                                        ; implicit-def: $vgpr58
	s_and_saveexec_b64 s[34:35], s[0:1]
	s_xor_b64 s[0:1], exec, s[34:35]
; %bb.160:                              ;   in Loop: Header=BB2_3 Depth=1
	v_bfe_u32 v58, v59, 16, 1
	v_add3_u32 v58, v59, v58, s6
                                        ; implicit-def: $vgpr59
; %bb.161:                              ;   in Loop: Header=BB2_3 Depth=1
	s_andn2_saveexec_b64 s[34:35], s[0:1]
; %bb.162:                              ;   in Loop: Header=BB2_3 Depth=1
	v_or_b32_e32 v58, 0x10000, v59
	v_cmp_eq_u32_sdwa s[0:1], v59, v36 src0_sel:WORD_0 src1_sel:DWORD
	v_cndmask_b32_e64 v58, v58, v59, s[0:1]
; %bb.163:                              ;   in Loop: Header=BB2_3 Depth=1
	s_or_b64 exec, exec, s[34:35]
	v_lshlrev_b32_e32 v59, 16, v60
	v_add_f32_e32 v61, 0xc3080000, v59
	v_and_b32_e32 v59, 0x7f800000, v61
	v_cmp_ne_u32_e64 s[0:1], s5, v59
                                        ; implicit-def: $vgpr59
	s_and_saveexec_b64 s[34:35], s[0:1]
	s_xor_b64 s[0:1], exec, s[34:35]
; %bb.164:                              ;   in Loop: Header=BB2_3 Depth=1
	v_bfe_u32 v59, v61, 16, 1
	v_add3_u32 v59, v61, v59, s6
                                        ; implicit-def: $vgpr61
; %bb.165:                              ;   in Loop: Header=BB2_3 Depth=1
	s_andn2_saveexec_b64 s[34:35], s[0:1]
; %bb.166:                              ;   in Loop: Header=BB2_3 Depth=1
	v_or_b32_e32 v59, 0x10000, v61
	v_cmp_eq_u32_sdwa s[0:1], v61, v36 src0_sel:WORD_0 src1_sel:DWORD
	v_cndmask_b32_e64 v59, v59, v61, s[0:1]
; %bb.167:                              ;   in Loop: Header=BB2_3 Depth=1
	s_or_b64 exec, exec, s[34:35]
	v_and_b32_e32 v60, 0xffff0000, v60
	v_add_f32_e32 v60, 0xc3080000, v60
	v_and_b32_e32 v61, 0x7f800000, v60
	v_cmp_ne_u32_e64 s[0:1], s5, v61
                                        ; implicit-def: $vgpr61
	s_and_saveexec_b64 s[34:35], s[0:1]
	s_xor_b64 s[0:1], exec, s[34:35]
; %bb.168:                              ;   in Loop: Header=BB2_3 Depth=1
	v_bfe_u32 v61, v60, 16, 1
	v_add3_u32 v61, v60, v61, s6
                                        ; implicit-def: $vgpr60
; %bb.169:                              ;   in Loop: Header=BB2_3 Depth=1
	s_andn2_saveexec_b64 s[34:35], s[0:1]
; %bb.170:                              ;   in Loop: Header=BB2_3 Depth=1
	v_or_b32_e32 v61, 0x10000, v60
	v_cmp_eq_u32_sdwa s[0:1], v60, v36 src0_sel:WORD_0 src1_sel:DWORD
	v_cndmask_b32_e64 v61, v61, v60, s[0:1]
; %bb.171:                              ;   in Loop: Header=BB2_3 Depth=1
	s_or_b64 exec, exec, s[34:35]
	v_and_b32_e32 v6, 0xffff0000, v6
	s_waitcnt vmcnt(1)
	v_lshlrev_b32_e32 v62, 16, v46
	v_and_b32_e32 v60, 0xffff0000, v46
	v_fma_f32 v46, v6, v62, v60
	v_and_b32_e32 v6, 0x7f800000, v46
	v_cmp_ne_u32_e64 s[0:1], s5, v6
                                        ; implicit-def: $vgpr6
	s_and_saveexec_b64 s[34:35], s[0:1]
	s_xor_b64 s[0:1], exec, s[34:35]
; %bb.172:                              ;   in Loop: Header=BB2_3 Depth=1
	v_bfe_u32 v6, v46, 16, 1
	v_add3_u32 v6, v46, v6, s6
                                        ; implicit-def: $vgpr46
; %bb.173:                              ;   in Loop: Header=BB2_3 Depth=1
	s_andn2_saveexec_b64 s[34:35], s[0:1]
; %bb.174:                              ;   in Loop: Header=BB2_3 Depth=1
	v_or_b32_e32 v6, 0x10000, v46
	v_cmp_eq_u32_sdwa s[0:1], v46, v36 src0_sel:WORD_0 src1_sel:DWORD
	v_cndmask_b32_e64 v6, v6, v46, s[0:1]
; %bb.175:                              ;   in Loop: Header=BB2_3 Depth=1
	s_or_b64 exec, exec, s[34:35]
	v_and_b32_e32 v46, 0xffff0000, v54
	v_fma_f32 v54, v46, v62, v60
	v_and_b32_e32 v46, 0x7f800000, v54
	v_cmp_ne_u32_e64 s[0:1], s5, v46
                                        ; implicit-def: $vgpr46
	s_and_saveexec_b64 s[34:35], s[0:1]
	s_xor_b64 s[0:1], exec, s[34:35]
; %bb.176:                              ;   in Loop: Header=BB2_3 Depth=1
	v_bfe_u32 v46, v54, 16, 1
	v_add3_u32 v46, v54, v46, s6
                                        ; implicit-def: $vgpr54
; %bb.177:                              ;   in Loop: Header=BB2_3 Depth=1
	s_andn2_saveexec_b64 s[34:35], s[0:1]
; %bb.178:                              ;   in Loop: Header=BB2_3 Depth=1
	v_or_b32_e32 v46, 0x10000, v54
	v_cmp_eq_u32_sdwa s[0:1], v54, v36 src0_sel:WORD_0 src1_sel:DWORD
	v_cndmask_b32_e64 v46, v46, v54, s[0:1]
; %bb.179:                              ;   in Loop: Header=BB2_3 Depth=1
	s_or_b64 exec, exec, s[34:35]
	v_and_b32_e32 v54, 0xffff0000, v55
	v_fma_f32 v55, v54, v62, v60
	v_and_b32_e32 v54, 0x7f800000, v55
	v_cmp_ne_u32_e64 s[0:1], s5, v54
                                        ; implicit-def: $vgpr54
	s_and_saveexec_b64 s[34:35], s[0:1]
	s_xor_b64 s[0:1], exec, s[34:35]
; %bb.180:                              ;   in Loop: Header=BB2_3 Depth=1
	v_bfe_u32 v54, v55, 16, 1
	v_add3_u32 v54, v55, v54, s6
                                        ; implicit-def: $vgpr55
; %bb.181:                              ;   in Loop: Header=BB2_3 Depth=1
	s_andn2_saveexec_b64 s[34:35], s[0:1]
; %bb.182:                              ;   in Loop: Header=BB2_3 Depth=1
	v_or_b32_e32 v54, 0x10000, v55
	v_cmp_eq_u32_sdwa s[0:1], v55, v36 src0_sel:WORD_0 src1_sel:DWORD
	v_cndmask_b32_e64 v54, v54, v55, s[0:1]
; %bb.183:                              ;   in Loop: Header=BB2_3 Depth=1
	s_or_b64 exec, exec, s[34:35]
	v_and_b32_e32 v55, 0xffff0000, v56
	v_fma_f32 v56, v55, v62, v60
	v_and_b32_e32 v55, 0x7f800000, v56
	v_cmp_ne_u32_e64 s[0:1], s5, v55
                                        ; implicit-def: $vgpr55
	s_and_saveexec_b64 s[34:35], s[0:1]
	s_xor_b64 s[0:1], exec, s[34:35]
; %bb.184:                              ;   in Loop: Header=BB2_3 Depth=1
	v_bfe_u32 v55, v56, 16, 1
	v_add3_u32 v55, v56, v55, s6
                                        ; implicit-def: $vgpr56
; %bb.185:                              ;   in Loop: Header=BB2_3 Depth=1
	s_andn2_saveexec_b64 s[34:35], s[0:1]
; %bb.186:                              ;   in Loop: Header=BB2_3 Depth=1
	v_or_b32_e32 v55, 0x10000, v56
	v_cmp_eq_u32_sdwa s[0:1], v56, v36 src0_sel:WORD_0 src1_sel:DWORD
	v_cndmask_b32_e64 v55, v55, v56, s[0:1]
; %bb.187:                              ;   in Loop: Header=BB2_3 Depth=1
	s_or_b64 exec, exec, s[34:35]
	v_and_b32_e32 v56, 0xffff0000, v57
	v_fma_f32 v57, v56, v62, v60
	v_and_b32_e32 v56, 0x7f800000, v57
	v_cmp_ne_u32_e64 s[0:1], s5, v56
                                        ; implicit-def: $vgpr56
	s_and_saveexec_b64 s[34:35], s[0:1]
	s_xor_b64 s[0:1], exec, s[34:35]
; %bb.188:                              ;   in Loop: Header=BB2_3 Depth=1
	v_bfe_u32 v56, v57, 16, 1
	v_add3_u32 v56, v57, v56, s6
                                        ; implicit-def: $vgpr57
; %bb.189:                              ;   in Loop: Header=BB2_3 Depth=1
	s_andn2_saveexec_b64 s[34:35], s[0:1]
; %bb.190:                              ;   in Loop: Header=BB2_3 Depth=1
	v_or_b32_e32 v56, 0x10000, v57
	v_cmp_eq_u32_sdwa s[0:1], v57, v36 src0_sel:WORD_0 src1_sel:DWORD
	v_cndmask_b32_e64 v56, v56, v57, s[0:1]
; %bb.191:                              ;   in Loop: Header=BB2_3 Depth=1
	s_or_b64 exec, exec, s[34:35]
	v_and_b32_e32 v57, 0xffff0000, v58
	v_fma_f32 v58, v57, v62, v60
	v_and_b32_e32 v57, 0x7f800000, v58
	v_cmp_ne_u32_e64 s[0:1], s5, v57
                                        ; implicit-def: $vgpr57
	s_and_saveexec_b64 s[34:35], s[0:1]
	s_xor_b64 s[0:1], exec, s[34:35]
; %bb.192:                              ;   in Loop: Header=BB2_3 Depth=1
	v_bfe_u32 v57, v58, 16, 1
	v_add3_u32 v57, v58, v57, s6
                                        ; implicit-def: $vgpr58
; %bb.193:                              ;   in Loop: Header=BB2_3 Depth=1
	s_andn2_saveexec_b64 s[34:35], s[0:1]
; %bb.194:                              ;   in Loop: Header=BB2_3 Depth=1
	v_or_b32_e32 v57, 0x10000, v58
	v_cmp_eq_u32_sdwa s[0:1], v58, v36 src0_sel:WORD_0 src1_sel:DWORD
	v_cndmask_b32_e64 v57, v57, v58, s[0:1]
; %bb.195:                              ;   in Loop: Header=BB2_3 Depth=1
	s_or_b64 exec, exec, s[34:35]
	v_and_b32_e32 v58, 0xffff0000, v59
	v_fma_f32 v59, v58, v62, v60
	v_and_b32_e32 v58, 0x7f800000, v59
	v_cmp_ne_u32_e64 s[0:1], s5, v58
                                        ; implicit-def: $vgpr58
	s_and_saveexec_b64 s[34:35], s[0:1]
	s_xor_b64 s[0:1], exec, s[34:35]
; %bb.196:                              ;   in Loop: Header=BB2_3 Depth=1
	v_bfe_u32 v58, v59, 16, 1
	v_add3_u32 v58, v59, v58, s6
                                        ; implicit-def: $vgpr59
; %bb.197:                              ;   in Loop: Header=BB2_3 Depth=1
	s_andn2_saveexec_b64 s[34:35], s[0:1]
; %bb.198:                              ;   in Loop: Header=BB2_3 Depth=1
	v_or_b32_e32 v58, 0x10000, v59
	v_cmp_eq_u32_sdwa s[0:1], v59, v36 src0_sel:WORD_0 src1_sel:DWORD
	v_cndmask_b32_e64 v58, v58, v59, s[0:1]
; %bb.199:                              ;   in Loop: Header=BB2_3 Depth=1
	s_or_b64 exec, exec, s[34:35]
	v_and_b32_e32 v59, 0xffff0000, v61
	v_fmac_f32_e32 v60, v59, v62
	v_and_b32_e32 v59, 0x7f800000, v60
	v_cmp_ne_u32_e64 s[0:1], s5, v59
                                        ; implicit-def: $vgpr59
	s_and_saveexec_b64 s[34:35], s[0:1]
	s_xor_b64 s[0:1], exec, s[34:35]
; %bb.200:                              ;   in Loop: Header=BB2_3 Depth=1
	v_bfe_u32 v59, v60, 16, 1
	v_add3_u32 v59, v60, v59, s6
                                        ; implicit-def: $vgpr60
; %bb.201:                              ;   in Loop: Header=BB2_3 Depth=1
	s_andn2_saveexec_b64 s[34:35], s[0:1]
; %bb.202:                              ;   in Loop: Header=BB2_3 Depth=1
	v_or_b32_e32 v59, 0x10000, v60
	v_cmp_eq_u32_sdwa s[0:1], v60, v36 src0_sel:WORD_0 src1_sel:DWORD
	v_cndmask_b32_e64 v59, v59, v60, s[0:1]
; %bb.203:                              ;   in Loop: Header=BB2_3 Depth=1
	s_or_b64 exec, exec, s[34:35]
	v_lshrrev_b32_e32 v60, 4, v7
	;;#ASMSTART
	v_and_or_b32 v61, v7, v37, v38
	;;#ASMEND
	;;#ASMSTART
	v_and_or_b32 v63, v60, v37, v38
	;;#ASMEND
	v_lshrrev_b32_e32 v60, 8, v7
	v_lshrrev_b32_e32 v7, 12, v7
	;;#ASMSTART
	v_and_or_b32 v65, v60, v37, v38
	;;#ASMEND
	;;#ASMSTART
	v_and_or_b32 v60, v7, v37, v38
	;;#ASMEND
	v_lshlrev_b32_e32 v7, 16, v61
	v_add_f32_e32 v62, 0xc3080000, v7
	v_and_b32_e32 v7, 0x7f800000, v62
	v_cmp_ne_u32_e64 s[0:1], s5, v7
                                        ; implicit-def: $vgpr7
	s_and_saveexec_b64 s[34:35], s[0:1]
	s_xor_b64 s[0:1], exec, s[34:35]
; %bb.204:                              ;   in Loop: Header=BB2_3 Depth=1
	v_bfe_u32 v7, v62, 16, 1
	v_add3_u32 v7, v62, v7, s6
                                        ; implicit-def: $vgpr62
; %bb.205:                              ;   in Loop: Header=BB2_3 Depth=1
	s_andn2_saveexec_b64 s[34:35], s[0:1]
; %bb.206:                              ;   in Loop: Header=BB2_3 Depth=1
	v_or_b32_e32 v7, 0x10000, v62
	v_cmp_eq_u32_sdwa s[0:1], v62, v36 src0_sel:WORD_0 src1_sel:DWORD
	v_cndmask_b32_e64 v7, v7, v62, s[0:1]
; %bb.207:                              ;   in Loop: Header=BB2_3 Depth=1
	s_or_b64 exec, exec, s[34:35]
	v_and_b32_e32 v61, 0xffff0000, v61
	v_add_f32_e32 v62, 0xc3080000, v61
	v_and_b32_e32 v61, 0x7f800000, v62
	v_cmp_ne_u32_e64 s[0:1], s5, v61
                                        ; implicit-def: $vgpr61
	s_and_saveexec_b64 s[34:35], s[0:1]
	s_xor_b64 s[0:1], exec, s[34:35]
; %bb.208:                              ;   in Loop: Header=BB2_3 Depth=1
	v_bfe_u32 v61, v62, 16, 1
	v_add3_u32 v61, v62, v61, s6
                                        ; implicit-def: $vgpr62
; %bb.209:                              ;   in Loop: Header=BB2_3 Depth=1
	s_andn2_saveexec_b64 s[34:35], s[0:1]
; %bb.210:                              ;   in Loop: Header=BB2_3 Depth=1
	v_or_b32_e32 v61, 0x10000, v62
	v_cmp_eq_u32_sdwa s[0:1], v62, v36 src0_sel:WORD_0 src1_sel:DWORD
	v_cndmask_b32_e64 v61, v61, v62, s[0:1]
; %bb.211:                              ;   in Loop: Header=BB2_3 Depth=1
	s_or_b64 exec, exec, s[34:35]
	v_lshlrev_b32_e32 v62, 16, v63
	v_add_f32_e32 v64, 0xc3080000, v62
	v_and_b32_e32 v62, 0x7f800000, v64
	v_cmp_ne_u32_e64 s[0:1], s5, v62
                                        ; implicit-def: $vgpr62
	s_and_saveexec_b64 s[34:35], s[0:1]
	s_xor_b64 s[0:1], exec, s[34:35]
; %bb.212:                              ;   in Loop: Header=BB2_3 Depth=1
	v_bfe_u32 v62, v64, 16, 1
	v_add3_u32 v62, v64, v62, s6
                                        ; implicit-def: $vgpr64
; %bb.213:                              ;   in Loop: Header=BB2_3 Depth=1
	s_andn2_saveexec_b64 s[34:35], s[0:1]
; %bb.214:                              ;   in Loop: Header=BB2_3 Depth=1
	v_or_b32_e32 v62, 0x10000, v64
	v_cmp_eq_u32_sdwa s[0:1], v64, v36 src0_sel:WORD_0 src1_sel:DWORD
	v_cndmask_b32_e64 v62, v62, v64, s[0:1]
; %bb.215:                              ;   in Loop: Header=BB2_3 Depth=1
	s_or_b64 exec, exec, s[34:35]
	v_and_b32_e32 v63, 0xffff0000, v63
	v_add_f32_e32 v64, 0xc3080000, v63
	v_and_b32_e32 v63, 0x7f800000, v64
	v_cmp_ne_u32_e64 s[0:1], s5, v63
                                        ; implicit-def: $vgpr63
	s_and_saveexec_b64 s[34:35], s[0:1]
	s_xor_b64 s[0:1], exec, s[34:35]
; %bb.216:                              ;   in Loop: Header=BB2_3 Depth=1
	v_bfe_u32 v63, v64, 16, 1
	v_add3_u32 v63, v64, v63, s6
                                        ; implicit-def: $vgpr64
; %bb.217:                              ;   in Loop: Header=BB2_3 Depth=1
	s_andn2_saveexec_b64 s[34:35], s[0:1]
; %bb.218:                              ;   in Loop: Header=BB2_3 Depth=1
	v_or_b32_e32 v63, 0x10000, v64
	v_cmp_eq_u32_sdwa s[0:1], v64, v36 src0_sel:WORD_0 src1_sel:DWORD
	v_cndmask_b32_e64 v63, v63, v64, s[0:1]
; %bb.219:                              ;   in Loop: Header=BB2_3 Depth=1
	s_or_b64 exec, exec, s[34:35]
	v_lshlrev_b32_e32 v64, 16, v65
	v_add_f32_e32 v66, 0xc3080000, v64
	v_and_b32_e32 v64, 0x7f800000, v66
	v_cmp_ne_u32_e64 s[0:1], s5, v64
                                        ; implicit-def: $vgpr64
	s_and_saveexec_b64 s[34:35], s[0:1]
	s_xor_b64 s[0:1], exec, s[34:35]
; %bb.220:                              ;   in Loop: Header=BB2_3 Depth=1
	v_bfe_u32 v64, v66, 16, 1
	v_add3_u32 v64, v66, v64, s6
                                        ; implicit-def: $vgpr66
; %bb.221:                              ;   in Loop: Header=BB2_3 Depth=1
	s_andn2_saveexec_b64 s[34:35], s[0:1]
; %bb.222:                              ;   in Loop: Header=BB2_3 Depth=1
	v_or_b32_e32 v64, 0x10000, v66
	v_cmp_eq_u32_sdwa s[0:1], v66, v36 src0_sel:WORD_0 src1_sel:DWORD
	v_cndmask_b32_e64 v64, v64, v66, s[0:1]
; %bb.223:                              ;   in Loop: Header=BB2_3 Depth=1
	s_or_b64 exec, exec, s[34:35]
	v_and_b32_e32 v65, 0xffff0000, v65
	v_add_f32_e32 v66, 0xc3080000, v65
	v_and_b32_e32 v65, 0x7f800000, v66
	v_cmp_ne_u32_e64 s[0:1], s5, v65
                                        ; implicit-def: $vgpr65
	s_and_saveexec_b64 s[34:35], s[0:1]
	s_xor_b64 s[0:1], exec, s[34:35]
; %bb.224:                              ;   in Loop: Header=BB2_3 Depth=1
	v_bfe_u32 v65, v66, 16, 1
	v_add3_u32 v65, v66, v65, s6
                                        ; implicit-def: $vgpr66
; %bb.225:                              ;   in Loop: Header=BB2_3 Depth=1
	s_andn2_saveexec_b64 s[34:35], s[0:1]
; %bb.226:                              ;   in Loop: Header=BB2_3 Depth=1
	v_or_b32_e32 v65, 0x10000, v66
	v_cmp_eq_u32_sdwa s[0:1], v66, v36 src0_sel:WORD_0 src1_sel:DWORD
	v_cndmask_b32_e64 v65, v65, v66, s[0:1]
; %bb.227:                              ;   in Loop: Header=BB2_3 Depth=1
	s_or_b64 exec, exec, s[34:35]
	v_lshlrev_b32_e32 v66, 16, v60
	v_add_f32_e32 v67, 0xc3080000, v66
	v_and_b32_e32 v66, 0x7f800000, v67
	v_cmp_ne_u32_e64 s[0:1], s5, v66
                                        ; implicit-def: $vgpr66
	s_and_saveexec_b64 s[34:35], s[0:1]
	s_xor_b64 s[0:1], exec, s[34:35]
; %bb.228:                              ;   in Loop: Header=BB2_3 Depth=1
	v_bfe_u32 v66, v67, 16, 1
	v_add3_u32 v66, v67, v66, s6
                                        ; implicit-def: $vgpr67
; %bb.229:                              ;   in Loop: Header=BB2_3 Depth=1
	s_andn2_saveexec_b64 s[34:35], s[0:1]
; %bb.230:                              ;   in Loop: Header=BB2_3 Depth=1
	v_or_b32_e32 v66, 0x10000, v67
	v_cmp_eq_u32_sdwa s[0:1], v67, v36 src0_sel:WORD_0 src1_sel:DWORD
	v_cndmask_b32_e64 v66, v66, v67, s[0:1]
; %bb.231:                              ;   in Loop: Header=BB2_3 Depth=1
	s_or_b64 exec, exec, s[34:35]
	v_and_b32_e32 v60, 0xffff0000, v60
	v_add_f32_e32 v60, 0xc3080000, v60
	v_and_b32_e32 v67, 0x7f800000, v60
	v_cmp_ne_u32_e64 s[0:1], s5, v67
                                        ; implicit-def: $vgpr67
	s_and_saveexec_b64 s[34:35], s[0:1]
	s_xor_b64 s[0:1], exec, s[34:35]
; %bb.232:                              ;   in Loop: Header=BB2_3 Depth=1
	v_bfe_u32 v67, v60, 16, 1
	v_add3_u32 v67, v60, v67, s6
                                        ; implicit-def: $vgpr60
; %bb.233:                              ;   in Loop: Header=BB2_3 Depth=1
	s_andn2_saveexec_b64 s[34:35], s[0:1]
; %bb.234:                              ;   in Loop: Header=BB2_3 Depth=1
	v_or_b32_e32 v67, 0x10000, v60
	v_cmp_eq_u32_sdwa s[0:1], v60, v36 src0_sel:WORD_0 src1_sel:DWORD
	v_cndmask_b32_e64 v67, v67, v60, s[0:1]
; %bb.235:                              ;   in Loop: Header=BB2_3 Depth=1
	s_or_b64 exec, exec, s[34:35]
	v_and_b32_e32 v7, 0xffff0000, v7
	s_waitcnt vmcnt(0)
	v_lshlrev_b32_e32 v68, 16, v9
	v_and_b32_e32 v60, 0xffff0000, v9
	v_fma_f32 v9, v7, v68, v60
	v_and_b32_e32 v7, 0x7f800000, v9
	v_cmp_ne_u32_e64 s[0:1], s5, v7
                                        ; implicit-def: $vgpr7
	s_and_saveexec_b64 s[34:35], s[0:1]
	s_xor_b64 s[0:1], exec, s[34:35]
; %bb.236:                              ;   in Loop: Header=BB2_3 Depth=1
	v_bfe_u32 v7, v9, 16, 1
	v_add3_u32 v7, v9, v7, s6
                                        ; implicit-def: $vgpr9
; %bb.237:                              ;   in Loop: Header=BB2_3 Depth=1
	s_andn2_saveexec_b64 s[34:35], s[0:1]
; %bb.238:                              ;   in Loop: Header=BB2_3 Depth=1
	v_or_b32_e32 v7, 0x10000, v9
	v_cmp_eq_u32_sdwa s[0:1], v9, v36 src0_sel:WORD_0 src1_sel:DWORD
	v_cndmask_b32_e64 v7, v7, v9, s[0:1]
; %bb.239:                              ;   in Loop: Header=BB2_3 Depth=1
	s_or_b64 exec, exec, s[34:35]
	v_and_b32_e32 v9, 0xffff0000, v61
	v_fma_f32 v61, v9, v68, v60
	v_and_b32_e32 v9, 0x7f800000, v61
	v_cmp_ne_u32_e64 s[0:1], s5, v9
                                        ; implicit-def: $vgpr9
	s_and_saveexec_b64 s[34:35], s[0:1]
	s_xor_b64 s[0:1], exec, s[34:35]
; %bb.240:                              ;   in Loop: Header=BB2_3 Depth=1
	v_bfe_u32 v9, v61, 16, 1
	v_add3_u32 v9, v61, v9, s6
                                        ; implicit-def: $vgpr61
; %bb.241:                              ;   in Loop: Header=BB2_3 Depth=1
	s_andn2_saveexec_b64 s[34:35], s[0:1]
; %bb.242:                              ;   in Loop: Header=BB2_3 Depth=1
	v_or_b32_e32 v9, 0x10000, v61
	v_cmp_eq_u32_sdwa s[0:1], v61, v36 src0_sel:WORD_0 src1_sel:DWORD
	v_cndmask_b32_e64 v9, v9, v61, s[0:1]
; %bb.243:                              ;   in Loop: Header=BB2_3 Depth=1
	s_or_b64 exec, exec, s[34:35]
	v_and_b32_e32 v61, 0xffff0000, v62
	v_fma_f32 v62, v61, v68, v60
	v_and_b32_e32 v61, 0x7f800000, v62
	v_cmp_ne_u32_e64 s[0:1], s5, v61
                                        ; implicit-def: $vgpr61
	s_and_saveexec_b64 s[34:35], s[0:1]
	s_xor_b64 s[0:1], exec, s[34:35]
; %bb.244:                              ;   in Loop: Header=BB2_3 Depth=1
	v_bfe_u32 v61, v62, 16, 1
	v_add3_u32 v61, v62, v61, s6
                                        ; implicit-def: $vgpr62
; %bb.245:                              ;   in Loop: Header=BB2_3 Depth=1
	s_andn2_saveexec_b64 s[34:35], s[0:1]
; %bb.246:                              ;   in Loop: Header=BB2_3 Depth=1
	v_or_b32_e32 v61, 0x10000, v62
	v_cmp_eq_u32_sdwa s[0:1], v62, v36 src0_sel:WORD_0 src1_sel:DWORD
	v_cndmask_b32_e64 v61, v61, v62, s[0:1]
; %bb.247:                              ;   in Loop: Header=BB2_3 Depth=1
	s_or_b64 exec, exec, s[34:35]
	v_and_b32_e32 v62, 0xffff0000, v63
	v_fma_f32 v63, v62, v68, v60
	v_and_b32_e32 v62, 0x7f800000, v63
	v_cmp_ne_u32_e64 s[0:1], s5, v62
                                        ; implicit-def: $vgpr62
	s_and_saveexec_b64 s[34:35], s[0:1]
	s_xor_b64 s[0:1], exec, s[34:35]
; %bb.248:                              ;   in Loop: Header=BB2_3 Depth=1
	v_bfe_u32 v62, v63, 16, 1
	v_add3_u32 v62, v63, v62, s6
                                        ; implicit-def: $vgpr63
; %bb.249:                              ;   in Loop: Header=BB2_3 Depth=1
	s_andn2_saveexec_b64 s[34:35], s[0:1]
; %bb.250:                              ;   in Loop: Header=BB2_3 Depth=1
	v_or_b32_e32 v62, 0x10000, v63
	v_cmp_eq_u32_sdwa s[0:1], v63, v36 src0_sel:WORD_0 src1_sel:DWORD
	v_cndmask_b32_e64 v62, v62, v63, s[0:1]
; %bb.251:                              ;   in Loop: Header=BB2_3 Depth=1
	s_or_b64 exec, exec, s[34:35]
	v_and_b32_e32 v63, 0xffff0000, v64
	v_fma_f32 v64, v63, v68, v60
	v_and_b32_e32 v63, 0x7f800000, v64
	v_cmp_ne_u32_e64 s[0:1], s5, v63
                                        ; implicit-def: $vgpr63
	s_and_saveexec_b64 s[34:35], s[0:1]
	s_xor_b64 s[0:1], exec, s[34:35]
; %bb.252:                              ;   in Loop: Header=BB2_3 Depth=1
	v_bfe_u32 v63, v64, 16, 1
	v_add3_u32 v63, v64, v63, s6
                                        ; implicit-def: $vgpr64
; %bb.253:                              ;   in Loop: Header=BB2_3 Depth=1
	s_andn2_saveexec_b64 s[34:35], s[0:1]
; %bb.254:                              ;   in Loop: Header=BB2_3 Depth=1
	v_or_b32_e32 v63, 0x10000, v64
	v_cmp_eq_u32_sdwa s[0:1], v64, v36 src0_sel:WORD_0 src1_sel:DWORD
	v_cndmask_b32_e64 v63, v63, v64, s[0:1]
; %bb.255:                              ;   in Loop: Header=BB2_3 Depth=1
	s_or_b64 exec, exec, s[34:35]
	v_and_b32_e32 v64, 0xffff0000, v65
	v_fma_f32 v65, v64, v68, v60
	v_and_b32_e32 v64, 0x7f800000, v65
	v_cmp_ne_u32_e64 s[0:1], s5, v64
                                        ; implicit-def: $vgpr64
	s_and_saveexec_b64 s[34:35], s[0:1]
	s_xor_b64 s[0:1], exec, s[34:35]
; %bb.256:                              ;   in Loop: Header=BB2_3 Depth=1
	v_bfe_u32 v64, v65, 16, 1
	v_add3_u32 v64, v65, v64, s6
                                        ; implicit-def: $vgpr65
; %bb.257:                              ;   in Loop: Header=BB2_3 Depth=1
	s_andn2_saveexec_b64 s[34:35], s[0:1]
; %bb.258:                              ;   in Loop: Header=BB2_3 Depth=1
	v_or_b32_e32 v64, 0x10000, v65
	v_cmp_eq_u32_sdwa s[0:1], v65, v36 src0_sel:WORD_0 src1_sel:DWORD
	v_cndmask_b32_e64 v64, v64, v65, s[0:1]
; %bb.259:                              ;   in Loop: Header=BB2_3 Depth=1
	s_or_b64 exec, exec, s[34:35]
	v_and_b32_e32 v65, 0xffff0000, v66
	v_fma_f32 v66, v65, v68, v60
	v_and_b32_e32 v65, 0x7f800000, v66
	v_cmp_ne_u32_e64 s[0:1], s5, v65
                                        ; implicit-def: $vgpr65
	s_and_saveexec_b64 s[34:35], s[0:1]
	s_xor_b64 s[0:1], exec, s[34:35]
; %bb.260:                              ;   in Loop: Header=BB2_3 Depth=1
	v_bfe_u32 v65, v66, 16, 1
	v_add3_u32 v65, v66, v65, s6
                                        ; implicit-def: $vgpr66
; %bb.261:                              ;   in Loop: Header=BB2_3 Depth=1
	s_andn2_saveexec_b64 s[34:35], s[0:1]
; %bb.262:                              ;   in Loop: Header=BB2_3 Depth=1
	v_or_b32_e32 v65, 0x10000, v66
	v_cmp_eq_u32_sdwa s[0:1], v66, v36 src0_sel:WORD_0 src1_sel:DWORD
	v_cndmask_b32_e64 v65, v65, v66, s[0:1]
; %bb.263:                              ;   in Loop: Header=BB2_3 Depth=1
	s_or_b64 exec, exec, s[34:35]
	v_and_b32_e32 v66, 0xffff0000, v67
	v_fmac_f32_e32 v60, v66, v68
	v_and_b32_e32 v66, 0x7f800000, v60
	v_cmp_ne_u32_e64 s[0:1], s5, v66
                                        ; implicit-def: $vgpr66
	s_and_saveexec_b64 s[34:35], s[0:1]
	s_xor_b64 s[0:1], exec, s[34:35]
; %bb.264:                              ;   in Loop: Header=BB2_3 Depth=1
	v_bfe_u32 v66, v60, 16, 1
	v_add3_u32 v66, v60, v66, s6
                                        ; implicit-def: $vgpr60
; %bb.265:                              ;   in Loop: Header=BB2_3 Depth=1
	s_andn2_saveexec_b64 s[34:35], s[0:1]
	s_cbranch_execz .LBB2_2
; %bb.266:                              ;   in Loop: Header=BB2_3 Depth=1
	v_or_b32_e32 v66, 0x10000, v60
	v_cmp_eq_u32_sdwa s[0:1], v60, v36 src0_sel:WORD_0 src1_sel:DWORD
	v_cndmask_b32_e64 v66, v66, v60, s[0:1]
	s_branch .LBB2_2
.LBB2_267:
	s_or_b64 exec, exec, s[24:25]
.LBB2_268:
	s_or_b64 exec, exec, s[10:11]
	v_add_u32_e32 v24, s19, v31
	v_cmp_gt_u32_e32 vcc, s3, v24
	s_and_saveexec_b64 s[0:1], vcc
	s_cbranch_execz .LBB2_534
; %bb.269:
	v_lshl_or_b32 v8, s8, 4, v29
	v_mul_lo_u32 v6, v8, s18
	v_ashrrev_i32_e32 v7, 31, v6
	v_and_b32_e32 v4, 0xfc, v27
	v_lshlrev_b64 v[6:7], 1, v[6:7]
	v_lshl_add_u32 v4, v24, 4, v4
	v_mov_b32_e32 v5, s21
	v_add_co_u32_e32 v6, vcc, s20, v6
	v_addc_co_u32_e32 v7, vcc, v5, v7, vcc
	v_ashrrev_i32_e32 v5, 31, v4
	v_lshlrev_b64 v[4:5], 1, v[4:5]
	v_add_co_u32_e32 v4, vcc, v6, v4
	v_addc_co_u32_e32 v5, vcc, v7, v5, vcc
	v_cmp_gt_i32_e32 vcc, s16, v8
	v_mov_b32_e32 v8, 0
	v_mov_b32_e32 v14, 0
	;; [unrolled: 1-line block ×5, first 2 shown]
	s_and_saveexec_b64 s[10:11], vcc
	s_cbranch_execz .LBB2_271
; %bb.270:
	global_load_dwordx2 v[14:15], v[4:5], off
	global_load_dwordx2 v[12:13], v[4:5], off offset:32
.LBB2_271:
	s_or_b64 exec, exec, s[10:11]
	v_mov_b32_e32 v9, 0
	v_mov_b32_e32 v18, 0
	;; [unrolled: 1-line block ×3, first 2 shown]
	s_and_saveexec_b64 s[10:11], vcc
	s_cbranch_execz .LBB2_273
; %bb.272:
	global_load_dwordx2 v[8:9], v[4:5], off offset:64
	global_load_dwordx2 v[18:19], v[4:5], off offset:96
.LBB2_273:
	s_or_b64 exec, exec, s[10:11]
	v_mov_b32_e32 v10, 0
	v_mov_b32_e32 v22, 0
	;; [unrolled: 1-line block ×5, first 2 shown]
	s_and_saveexec_b64 s[10:11], vcc
	s_cbranch_execz .LBB2_275
; %bb.274:
	global_load_dwordx2 v[22:23], v[4:5], off offset:128
	global_load_dwordx2 v[20:21], v[4:5], off offset:160
.LBB2_275:
	s_or_b64 exec, exec, s[10:11]
	v_mov_b32_e32 v11, 0
	v_mov_b32_e32 v16, 0
	v_mov_b32_e32 v17, 0
	s_and_saveexec_b64 s[10:11], vcc
	s_cbranch_execz .LBB2_277
; %bb.276:
	global_load_dwordx2 v[10:11], v[4:5], off offset:192
	global_load_dwordx2 v[16:17], v[4:5], off offset:224
.LBB2_277:
	s_or_b64 exec, exec, s[10:11]
	v_lshrrev_b32_e32 v4, 3, v24
	v_add_u32_e32 v4, s9, v4
	v_lshrrev_b32_e32 v24, 1, v24
	v_lshl_add_u32 v4, v4, 8, v30
	v_mul_lo_u32 v24, s2, v24
	v_ashrrev_i32_e32 v5, 31, v4
	v_lshl_or_b32 v25, s7, 4, v29
	v_lshlrev_b32_e32 v24, 4, v24
	v_lshlrev_b64 v[4:5], 2, v[4:5]
	v_add_lshl_u32 v24, v25, v24, 1
	v_mov_b32_e32 v6, s23
	v_add_co_u32_e32 v4, vcc, s22, v4
	v_ashrrev_i32_e32 v25, 31, v24
	v_addc_co_u32_e32 v5, vcc, v6, v5, vcc
	v_lshlrev_b64 v[24:25], 1, v[24:25]
	s_lshl_b32 s10, s2, 5
	v_mov_b32_e32 v29, s13
	v_add_co_u32_e32 v30, vcc, s12, v24
	s_ashr_i32 s11, s10, 31
	v_addc_co_u32_e32 v31, vcc, v29, v25, vcc
	s_lshl_b64 s[10:11], s[10:11], 1
	s_lshl_b32 s2, s2, 6
	v_mov_b32_e32 v24, s11
	v_add_co_u32_e32 v32, vcc, s10, v30
	s_ashr_i32 s3, s2, 31
	v_addc_co_u32_e32 v33, vcc, v31, v24, vcc
	s_lshl_b64 s[2:3], s[2:3], 1
	global_load_dwordx4 v[4:7], v[4:5], off
	v_mov_b32_e32 v24, s3
	v_add_co_u32_e32 v38, vcc, s2, v30
	s_ashr_i32 s5, s4, 31
	v_addc_co_u32_e32 v39, vcc, v31, v24, vcc
	s_lshl_b64 s[2:3], s[4:5], 1
	v_mov_b32_e32 v24, s3
	v_add_co_u32_e32 v40, vcc, s2, v30
	v_addc_co_u32_e32 v41, vcc, v31, v24, vcc
	global_load_dword v25, v[30:31], off
	global_load_dword v36, v[32:33], off
	;; [unrolled: 1-line block ×4, first 2 shown]
	v_mov_b32_e32 v30, 0xf000f
	v_mov_b32_e32 v32, 0x43004300
	s_waitcnt vmcnt(4)
	;;#ASMSTART
	v_and_or_b32 v29, v4, v30, v32
	;;#ASMEND
	s_mov_b32 s2, 0x7f800000
	v_lshrrev_b32_e32 v31, 4, v4
	v_lshrrev_b32_e32 v33, 8, v4
	;; [unrolled: 1-line block ×3, first 2 shown]
	;;#ASMSTART
	v_and_or_b32 v31, v31, v30, v32
	;;#ASMEND
	;;#ASMSTART
	v_and_or_b32 v33, v33, v30, v32
	;;#ASMEND
	;; [unrolled: 3-line block ×3, first 2 shown]
	v_lshlrev_b32_e32 v4, 16, v29
	v_add_f32_e32 v30, 0xc3080000, v4
	v_and_b32_e32 v4, 0x7f800000, v30
	v_cmp_ne_u32_e32 vcc, s2, v4
                                        ; implicit-def: $vgpr4
	s_and_saveexec_b64 s[2:3], vcc
	s_xor_b64 s[2:3], exec, s[2:3]
; %bb.278:
	v_bfe_u32 v4, v30, 16, 1
	s_movk_i32 s4, 0x7fff
	v_add3_u32 v4, v30, v4, s4
                                        ; implicit-def: $vgpr30
; %bb.279:
	s_andn2_saveexec_b64 s[2:3], s[2:3]
; %bb.280:
	v_mov_b32_e32 v4, 0
	v_or_b32_e32 v32, 0x10000, v30
	v_cmp_eq_u32_sdwa vcc, v30, v4 src0_sel:WORD_0 src1_sel:DWORD
	v_cndmask_b32_e32 v4, v32, v30, vcc
; %bb.281:
	s_or_b64 exec, exec, s[2:3]
	v_and_b32_e32 v29, 0xffff0000, v29
	v_add_f32_e32 v30, 0xc3080000, v29
	s_mov_b32 s2, 0x7f800000
	v_and_b32_e32 v29, 0x7f800000, v30
	v_cmp_ne_u32_e32 vcc, s2, v29
                                        ; implicit-def: $vgpr29
	s_and_saveexec_b64 s[2:3], vcc
	s_xor_b64 s[2:3], exec, s[2:3]
; %bb.282:
	v_bfe_u32 v29, v30, 16, 1
	s_movk_i32 s4, 0x7fff
	v_add3_u32 v29, v30, v29, s4
                                        ; implicit-def: $vgpr30
; %bb.283:
	s_andn2_saveexec_b64 s[2:3], s[2:3]
; %bb.284:
	v_mov_b32_e32 v29, 0
	v_or_b32_e32 v32, 0x10000, v30
	v_cmp_eq_u32_sdwa vcc, v30, v29 src0_sel:WORD_0 src1_sel:DWORD
	v_cndmask_b32_e32 v29, v32, v30, vcc
; %bb.285:
	s_or_b64 exec, exec, s[2:3]
	v_lshlrev_b32_e32 v30, 16, v31
	v_add_f32_e32 v32, 0xc3080000, v30
	s_mov_b32 s2, 0x7f800000
	v_and_b32_e32 v30, 0x7f800000, v32
	v_cmp_ne_u32_e32 vcc, s2, v30
                                        ; implicit-def: $vgpr30
	s_and_saveexec_b64 s[2:3], vcc
	s_xor_b64 s[2:3], exec, s[2:3]
; %bb.286:
	v_bfe_u32 v30, v32, 16, 1
	s_movk_i32 s4, 0x7fff
	v_add3_u32 v30, v32, v30, s4
                                        ; implicit-def: $vgpr32
; %bb.287:
	s_andn2_saveexec_b64 s[2:3], s[2:3]
; %bb.288:
	v_mov_b32_e32 v30, 0
	v_or_b32_e32 v34, 0x10000, v32
	v_cmp_eq_u32_sdwa vcc, v32, v30 src0_sel:WORD_0 src1_sel:DWORD
	v_cndmask_b32_e32 v30, v34, v32, vcc
; %bb.289:
	s_or_b64 exec, exec, s[2:3]
	v_and_b32_e32 v31, 0xffff0000, v31
	v_add_f32_e32 v32, 0xc3080000, v31
	s_mov_b32 s2, 0x7f800000
	v_and_b32_e32 v31, 0x7f800000, v32
	v_cmp_ne_u32_e32 vcc, s2, v31
                                        ; implicit-def: $vgpr31
	s_and_saveexec_b64 s[2:3], vcc
	s_xor_b64 s[2:3], exec, s[2:3]
; %bb.290:
	v_bfe_u32 v31, v32, 16, 1
	s_movk_i32 s4, 0x7fff
	v_add3_u32 v31, v32, v31, s4
                                        ; implicit-def: $vgpr32
; %bb.291:
	s_andn2_saveexec_b64 s[2:3], s[2:3]
; %bb.292:
	v_mov_b32_e32 v31, 0
	v_or_b32_e32 v34, 0x10000, v32
	v_cmp_eq_u32_sdwa vcc, v32, v31 src0_sel:WORD_0 src1_sel:DWORD
	v_cndmask_b32_e32 v31, v34, v32, vcc
; %bb.293:
	s_or_b64 exec, exec, s[2:3]
	v_lshlrev_b32_e32 v32, 16, v33
	v_add_f32_e32 v34, 0xc3080000, v32
	s_mov_b32 s2, 0x7f800000
	v_and_b32_e32 v32, 0x7f800000, v34
	v_cmp_ne_u32_e32 vcc, s2, v32
                                        ; implicit-def: $vgpr32
	s_and_saveexec_b64 s[2:3], vcc
	s_xor_b64 s[2:3], exec, s[2:3]
; %bb.294:
	v_bfe_u32 v32, v34, 16, 1
	s_movk_i32 s4, 0x7fff
	v_add3_u32 v32, v34, v32, s4
                                        ; implicit-def: $vgpr34
; %bb.295:
	s_andn2_saveexec_b64 s[2:3], s[2:3]
; %bb.296:
	v_mov_b32_e32 v32, 0
	v_or_b32_e32 v38, 0x10000, v34
	v_cmp_eq_u32_sdwa vcc, v34, v32 src0_sel:WORD_0 src1_sel:DWORD
	v_cndmask_b32_e32 v32, v38, v34, vcc
; %bb.297:
	s_or_b64 exec, exec, s[2:3]
	v_and_b32_e32 v33, 0xffff0000, v33
	v_add_f32_e32 v34, 0xc3080000, v33
	s_mov_b32 s2, 0x7f800000
	v_and_b32_e32 v33, 0x7f800000, v34
	v_cmp_ne_u32_e32 vcc, s2, v33
                                        ; implicit-def: $vgpr33
	s_and_saveexec_b64 s[2:3], vcc
	s_xor_b64 s[2:3], exec, s[2:3]
; %bb.298:
	v_bfe_u32 v33, v34, 16, 1
	s_movk_i32 s4, 0x7fff
	v_add3_u32 v33, v34, v33, s4
                                        ; implicit-def: $vgpr34
; %bb.299:
	s_andn2_saveexec_b64 s[2:3], s[2:3]
; %bb.300:
	v_mov_b32_e32 v33, 0
	v_or_b32_e32 v38, 0x10000, v34
	v_cmp_eq_u32_sdwa vcc, v34, v33 src0_sel:WORD_0 src1_sel:DWORD
	v_cndmask_b32_e32 v33, v38, v34, vcc
; %bb.301:
	s_or_b64 exec, exec, s[2:3]
	v_lshlrev_b32_e32 v34, 16, v37
	v_add_f32_e32 v38, 0xc3080000, v34
	s_mov_b32 s2, 0x7f800000
	v_and_b32_e32 v34, 0x7f800000, v38
	v_cmp_ne_u32_e32 vcc, s2, v34
                                        ; implicit-def: $vgpr34
	s_and_saveexec_b64 s[2:3], vcc
	s_xor_b64 s[2:3], exec, s[2:3]
; %bb.302:
	v_bfe_u32 v34, v38, 16, 1
	s_movk_i32 s4, 0x7fff
	v_add3_u32 v34, v38, v34, s4
                                        ; implicit-def: $vgpr38
; %bb.303:
	s_andn2_saveexec_b64 s[2:3], s[2:3]
; %bb.304:
	v_mov_b32_e32 v34, 0
	v_or_b32_e32 v39, 0x10000, v38
	v_cmp_eq_u32_sdwa vcc, v38, v34 src0_sel:WORD_0 src1_sel:DWORD
	v_cndmask_b32_e32 v34, v39, v38, vcc
; %bb.305:
	s_or_b64 exec, exec, s[2:3]
	v_and_b32_e32 v37, 0xffff0000, v37
	v_add_f32_e32 v37, 0xc3080000, v37
	s_mov_b32 s2, 0x7f800000
	v_and_b32_e32 v38, 0x7f800000, v37
	v_cmp_ne_u32_e32 vcc, s2, v38
                                        ; implicit-def: $vgpr38
	s_and_saveexec_b64 s[2:3], vcc
	s_xor_b64 s[2:3], exec, s[2:3]
; %bb.306:
	v_bfe_u32 v38, v37, 16, 1
	s_movk_i32 s4, 0x7fff
	v_add3_u32 v38, v37, v38, s4
                                        ; implicit-def: $vgpr37
; %bb.307:
	s_andn2_saveexec_b64 s[2:3], s[2:3]
; %bb.308:
	v_mov_b32_e32 v38, 0
	v_or_b32_e32 v39, 0x10000, v37
	v_cmp_eq_u32_sdwa vcc, v37, v38 src0_sel:WORD_0 src1_sel:DWORD
	v_cndmask_b32_e32 v38, v39, v37, vcc
; %bb.309:
	s_or_b64 exec, exec, s[2:3]
	v_and_b32_e32 v4, 0xffff0000, v4
	s_waitcnt vmcnt(3)
	v_lshlrev_b32_e32 v39, 16, v25
	v_and_b32_e32 v37, 0xffff0000, v25
	v_fma_f32 v25, v4, v39, v37
	s_mov_b32 s2, 0x7f800000
	v_and_b32_e32 v4, 0x7f800000, v25
	v_cmp_ne_u32_e32 vcc, s2, v4
                                        ; implicit-def: $vgpr4
	s_and_saveexec_b64 s[2:3], vcc
	s_xor_b64 s[2:3], exec, s[2:3]
; %bb.310:
	v_bfe_u32 v4, v25, 16, 1
	s_movk_i32 s4, 0x7fff
	v_add3_u32 v4, v25, v4, s4
                                        ; implicit-def: $vgpr25
; %bb.311:
	s_andn2_saveexec_b64 s[2:3], s[2:3]
; %bb.312:
	v_mov_b32_e32 v4, 0
	v_or_b32_e32 v40, 0x10000, v25
	v_cmp_eq_u32_sdwa vcc, v25, v4 src0_sel:WORD_0 src1_sel:DWORD
	v_cndmask_b32_e32 v4, v40, v25, vcc
; %bb.313:
	s_or_b64 exec, exec, s[2:3]
	v_and_b32_e32 v25, 0xffff0000, v29
	v_fma_f32 v29, v25, v39, v37
	s_mov_b32 s2, 0x7f800000
	v_and_b32_e32 v25, 0x7f800000, v29
	v_cmp_ne_u32_e32 vcc, s2, v25
                                        ; implicit-def: $vgpr25
	s_and_saveexec_b64 s[2:3], vcc
	s_xor_b64 s[2:3], exec, s[2:3]
; %bb.314:
	v_bfe_u32 v25, v29, 16, 1
	s_movk_i32 s4, 0x7fff
	v_add3_u32 v25, v29, v25, s4
                                        ; implicit-def: $vgpr29
; %bb.315:
	s_andn2_saveexec_b64 s[2:3], s[2:3]
; %bb.316:
	v_mov_b32_e32 v25, 0
	v_or_b32_e32 v40, 0x10000, v29
	v_cmp_eq_u32_sdwa vcc, v29, v25 src0_sel:WORD_0 src1_sel:DWORD
	v_cndmask_b32_e32 v25, v40, v29, vcc
; %bb.317:
	s_or_b64 exec, exec, s[2:3]
	v_and_b32_e32 v29, 0xffff0000, v30
	v_fma_f32 v30, v29, v39, v37
	s_mov_b32 s2, 0x7f800000
	v_and_b32_e32 v29, 0x7f800000, v30
	v_cmp_ne_u32_e32 vcc, s2, v29
                                        ; implicit-def: $vgpr29
	s_and_saveexec_b64 s[2:3], vcc
	s_xor_b64 s[2:3], exec, s[2:3]
; %bb.318:
	v_bfe_u32 v29, v30, 16, 1
	s_movk_i32 s4, 0x7fff
	v_add3_u32 v29, v30, v29, s4
                                        ; implicit-def: $vgpr30
; %bb.319:
	s_andn2_saveexec_b64 s[2:3], s[2:3]
; %bb.320:
	v_mov_b32_e32 v29, 0
	v_or_b32_e32 v40, 0x10000, v30
	v_cmp_eq_u32_sdwa vcc, v30, v29 src0_sel:WORD_0 src1_sel:DWORD
	v_cndmask_b32_e32 v29, v40, v30, vcc
; %bb.321:
	s_or_b64 exec, exec, s[2:3]
	v_and_b32_e32 v30, 0xffff0000, v31
	v_fma_f32 v31, v30, v39, v37
	s_mov_b32 s2, 0x7f800000
	v_and_b32_e32 v30, 0x7f800000, v31
	v_cmp_ne_u32_e32 vcc, s2, v30
                                        ; implicit-def: $vgpr30
	s_and_saveexec_b64 s[2:3], vcc
	s_xor_b64 s[2:3], exec, s[2:3]
; %bb.322:
	v_bfe_u32 v30, v31, 16, 1
	s_movk_i32 s4, 0x7fff
	v_add3_u32 v30, v31, v30, s4
                                        ; implicit-def: $vgpr31
; %bb.323:
	s_andn2_saveexec_b64 s[2:3], s[2:3]
; %bb.324:
	v_mov_b32_e32 v30, 0
	v_or_b32_e32 v40, 0x10000, v31
	v_cmp_eq_u32_sdwa vcc, v31, v30 src0_sel:WORD_0 src1_sel:DWORD
	v_cndmask_b32_e32 v30, v40, v31, vcc
; %bb.325:
	s_or_b64 exec, exec, s[2:3]
	v_and_b32_e32 v31, 0xffff0000, v32
	v_fma_f32 v32, v31, v39, v37
	s_mov_b32 s2, 0x7f800000
	v_and_b32_e32 v31, 0x7f800000, v32
	v_cmp_ne_u32_e32 vcc, s2, v31
                                        ; implicit-def: $vgpr31
	s_and_saveexec_b64 s[2:3], vcc
	s_xor_b64 s[2:3], exec, s[2:3]
; %bb.326:
	v_bfe_u32 v31, v32, 16, 1
	s_movk_i32 s4, 0x7fff
	v_add3_u32 v31, v32, v31, s4
                                        ; implicit-def: $vgpr32
; %bb.327:
	s_andn2_saveexec_b64 s[2:3], s[2:3]
; %bb.328:
	v_mov_b32_e32 v31, 0
	v_or_b32_e32 v40, 0x10000, v32
	v_cmp_eq_u32_sdwa vcc, v32, v31 src0_sel:WORD_0 src1_sel:DWORD
	v_cndmask_b32_e32 v31, v40, v32, vcc
; %bb.329:
	s_or_b64 exec, exec, s[2:3]
	v_and_b32_e32 v32, 0xffff0000, v33
	v_fma_f32 v33, v32, v39, v37
	s_mov_b32 s2, 0x7f800000
	v_and_b32_e32 v32, 0x7f800000, v33
	v_cmp_ne_u32_e32 vcc, s2, v32
                                        ; implicit-def: $vgpr32
	s_and_saveexec_b64 s[2:3], vcc
	s_xor_b64 s[2:3], exec, s[2:3]
; %bb.330:
	v_bfe_u32 v32, v33, 16, 1
	s_movk_i32 s4, 0x7fff
	v_add3_u32 v32, v33, v32, s4
                                        ; implicit-def: $vgpr33
; %bb.331:
	s_andn2_saveexec_b64 s[2:3], s[2:3]
; %bb.332:
	v_mov_b32_e32 v32, 0
	v_or_b32_e32 v40, 0x10000, v33
	v_cmp_eq_u32_sdwa vcc, v33, v32 src0_sel:WORD_0 src1_sel:DWORD
	v_cndmask_b32_e32 v32, v40, v33, vcc
; %bb.333:
	s_or_b64 exec, exec, s[2:3]
	v_and_b32_e32 v33, 0xffff0000, v34
	v_fma_f32 v34, v33, v39, v37
	s_mov_b32 s2, 0x7f800000
	v_and_b32_e32 v33, 0x7f800000, v34
	v_cmp_ne_u32_e32 vcc, s2, v33
                                        ; implicit-def: $vgpr33
	s_and_saveexec_b64 s[2:3], vcc
	s_xor_b64 s[2:3], exec, s[2:3]
; %bb.334:
	v_bfe_u32 v33, v34, 16, 1
	s_movk_i32 s4, 0x7fff
	v_add3_u32 v33, v34, v33, s4
                                        ; implicit-def: $vgpr34
; %bb.335:
	s_andn2_saveexec_b64 s[2:3], s[2:3]
; %bb.336:
	v_mov_b32_e32 v33, 0
	v_or_b32_e32 v40, 0x10000, v34
	v_cmp_eq_u32_sdwa vcc, v34, v33 src0_sel:WORD_0 src1_sel:DWORD
	v_cndmask_b32_e32 v33, v40, v34, vcc
; %bb.337:
	s_or_b64 exec, exec, s[2:3]
	v_and_b32_e32 v34, 0xffff0000, v38
	v_fmac_f32_e32 v37, v34, v39
	s_mov_b32 s2, 0x7f800000
	v_and_b32_e32 v34, 0x7f800000, v37
	v_cmp_ne_u32_e32 vcc, s2, v34
                                        ; implicit-def: $vgpr34
	s_and_saveexec_b64 s[2:3], vcc
	s_xor_b64 s[2:3], exec, s[2:3]
; %bb.338:
	v_bfe_u32 v34, v37, 16, 1
	s_movk_i32 s4, 0x7fff
	v_add3_u32 v34, v37, v34, s4
                                        ; implicit-def: $vgpr37
; %bb.339:
	s_andn2_saveexec_b64 s[2:3], s[2:3]
; %bb.340:
	v_mov_b32_e32 v34, 0
	v_or_b32_e32 v38, 0x10000, v37
	v_cmp_eq_u32_sdwa vcc, v37, v34 src0_sel:WORD_0 src1_sel:DWORD
	v_cndmask_b32_e32 v34, v38, v37, vcc
; %bb.341:
	s_or_b64 exec, exec, s[2:3]
	v_mov_b32_e32 v38, 0xf000f
	v_mov_b32_e32 v40, 0x43004300
	;;#ASMSTART
	v_and_or_b32 v37, v5, v38, v40
	;;#ASMEND
	v_lshrrev_b32_e32 v39, 4, v5
	v_lshrrev_b32_e32 v41, 8, v5
	;; [unrolled: 1-line block ×3, first 2 shown]
	;;#ASMSTART
	v_and_or_b32 v39, v39, v38, v40
	;;#ASMEND
	;;#ASMSTART
	v_and_or_b32 v41, v41, v38, v40
	;;#ASMEND
	;; [unrolled: 3-line block ×3, first 2 shown]
	v_lshlrev_b32_e32 v5, 16, v37
	v_add_f32_e32 v38, 0xc3080000, v5
	s_mov_b32 s2, 0x7f800000
	v_and_b32_e32 v5, 0x7f800000, v38
	v_cmp_ne_u32_e32 vcc, s2, v5
                                        ; implicit-def: $vgpr5
	s_and_saveexec_b64 s[2:3], vcc
	s_xor_b64 s[2:3], exec, s[2:3]
; %bb.342:
	v_bfe_u32 v5, v38, 16, 1
	s_movk_i32 s4, 0x7fff
	v_add3_u32 v5, v38, v5, s4
                                        ; implicit-def: $vgpr38
; %bb.343:
	s_andn2_saveexec_b64 s[2:3], s[2:3]
; %bb.344:
	v_mov_b32_e32 v5, 0
	v_or_b32_e32 v40, 0x10000, v38
	v_cmp_eq_u32_sdwa vcc, v38, v5 src0_sel:WORD_0 src1_sel:DWORD
	v_cndmask_b32_e32 v5, v40, v38, vcc
; %bb.345:
	s_or_b64 exec, exec, s[2:3]
	v_and_b32_e32 v37, 0xffff0000, v37
	v_add_f32_e32 v38, 0xc3080000, v37
	s_mov_b32 s2, 0x7f800000
	v_and_b32_e32 v37, 0x7f800000, v38
	v_cmp_ne_u32_e32 vcc, s2, v37
                                        ; implicit-def: $vgpr37
	s_and_saveexec_b64 s[2:3], vcc
	s_xor_b64 s[2:3], exec, s[2:3]
; %bb.346:
	v_bfe_u32 v37, v38, 16, 1
	s_movk_i32 s4, 0x7fff
	v_add3_u32 v37, v38, v37, s4
                                        ; implicit-def: $vgpr38
; %bb.347:
	s_andn2_saveexec_b64 s[2:3], s[2:3]
; %bb.348:
	v_mov_b32_e32 v37, 0
	v_or_b32_e32 v40, 0x10000, v38
	v_cmp_eq_u32_sdwa vcc, v38, v37 src0_sel:WORD_0 src1_sel:DWORD
	v_cndmask_b32_e32 v37, v40, v38, vcc
; %bb.349:
	s_or_b64 exec, exec, s[2:3]
	v_lshlrev_b32_e32 v38, 16, v39
	v_add_f32_e32 v40, 0xc3080000, v38
	s_mov_b32 s2, 0x7f800000
	v_and_b32_e32 v38, 0x7f800000, v40
	v_cmp_ne_u32_e32 vcc, s2, v38
                                        ; implicit-def: $vgpr38
	s_and_saveexec_b64 s[2:3], vcc
	s_xor_b64 s[2:3], exec, s[2:3]
; %bb.350:
	v_bfe_u32 v38, v40, 16, 1
	s_movk_i32 s4, 0x7fff
	v_add3_u32 v38, v40, v38, s4
                                        ; implicit-def: $vgpr40
; %bb.351:
	s_andn2_saveexec_b64 s[2:3], s[2:3]
; %bb.352:
	v_mov_b32_e32 v38, 0
	v_or_b32_e32 v42, 0x10000, v40
	v_cmp_eq_u32_sdwa vcc, v40, v38 src0_sel:WORD_0 src1_sel:DWORD
	v_cndmask_b32_e32 v38, v42, v40, vcc
; %bb.353:
	s_or_b64 exec, exec, s[2:3]
	v_and_b32_e32 v39, 0xffff0000, v39
	v_add_f32_e32 v40, 0xc3080000, v39
	s_mov_b32 s2, 0x7f800000
	v_and_b32_e32 v39, 0x7f800000, v40
	v_cmp_ne_u32_e32 vcc, s2, v39
                                        ; implicit-def: $vgpr39
	s_and_saveexec_b64 s[2:3], vcc
	s_xor_b64 s[2:3], exec, s[2:3]
; %bb.354:
	v_bfe_u32 v39, v40, 16, 1
	s_movk_i32 s4, 0x7fff
	v_add3_u32 v39, v40, v39, s4
                                        ; implicit-def: $vgpr40
; %bb.355:
	s_andn2_saveexec_b64 s[2:3], s[2:3]
; %bb.356:
	v_mov_b32_e32 v39, 0
	v_or_b32_e32 v42, 0x10000, v40
	v_cmp_eq_u32_sdwa vcc, v40, v39 src0_sel:WORD_0 src1_sel:DWORD
	v_cndmask_b32_e32 v39, v42, v40, vcc
; %bb.357:
	s_or_b64 exec, exec, s[2:3]
	v_lshlrev_b32_e32 v40, 16, v41
	v_add_f32_e32 v42, 0xc3080000, v40
	s_mov_b32 s2, 0x7f800000
	v_and_b32_e32 v40, 0x7f800000, v42
	v_cmp_ne_u32_e32 vcc, s2, v40
                                        ; implicit-def: $vgpr40
	s_and_saveexec_b64 s[2:3], vcc
	s_xor_b64 s[2:3], exec, s[2:3]
; %bb.358:
	v_bfe_u32 v40, v42, 16, 1
	s_movk_i32 s4, 0x7fff
	v_add3_u32 v40, v42, v40, s4
                                        ; implicit-def: $vgpr42
; %bb.359:
	s_andn2_saveexec_b64 s[2:3], s[2:3]
; %bb.360:
	v_mov_b32_e32 v40, 0
	v_or_b32_e32 v44, 0x10000, v42
	v_cmp_eq_u32_sdwa vcc, v42, v40 src0_sel:WORD_0 src1_sel:DWORD
	v_cndmask_b32_e32 v40, v44, v42, vcc
; %bb.361:
	s_or_b64 exec, exec, s[2:3]
	v_and_b32_e32 v41, 0xffff0000, v41
	v_add_f32_e32 v42, 0xc3080000, v41
	s_mov_b32 s2, 0x7f800000
	v_and_b32_e32 v41, 0x7f800000, v42
	v_cmp_ne_u32_e32 vcc, s2, v41
                                        ; implicit-def: $vgpr41
	s_and_saveexec_b64 s[2:3], vcc
	s_xor_b64 s[2:3], exec, s[2:3]
; %bb.362:
	v_bfe_u32 v41, v42, 16, 1
	s_movk_i32 s4, 0x7fff
	v_add3_u32 v41, v42, v41, s4
                                        ; implicit-def: $vgpr42
; %bb.363:
	s_andn2_saveexec_b64 s[2:3], s[2:3]
; %bb.364:
	v_mov_b32_e32 v41, 0
	v_or_b32_e32 v44, 0x10000, v42
	v_cmp_eq_u32_sdwa vcc, v42, v41 src0_sel:WORD_0 src1_sel:DWORD
	v_cndmask_b32_e32 v41, v44, v42, vcc
; %bb.365:
	s_or_b64 exec, exec, s[2:3]
	v_lshlrev_b32_e32 v42, 16, v43
	v_add_f32_e32 v44, 0xc3080000, v42
	s_mov_b32 s2, 0x7f800000
	v_and_b32_e32 v42, 0x7f800000, v44
	v_cmp_ne_u32_e32 vcc, s2, v42
                                        ; implicit-def: $vgpr42
	s_and_saveexec_b64 s[2:3], vcc
	s_xor_b64 s[2:3], exec, s[2:3]
; %bb.366:
	v_bfe_u32 v42, v44, 16, 1
	s_movk_i32 s4, 0x7fff
	v_add3_u32 v42, v44, v42, s4
                                        ; implicit-def: $vgpr44
; %bb.367:
	s_andn2_saveexec_b64 s[2:3], s[2:3]
; %bb.368:
	v_mov_b32_e32 v42, 0
	v_or_b32_e32 v45, 0x10000, v44
	v_cmp_eq_u32_sdwa vcc, v44, v42 src0_sel:WORD_0 src1_sel:DWORD
	v_cndmask_b32_e32 v42, v45, v44, vcc
; %bb.369:
	s_or_b64 exec, exec, s[2:3]
	v_and_b32_e32 v43, 0xffff0000, v43
	v_add_f32_e32 v43, 0xc3080000, v43
	s_mov_b32 s2, 0x7f800000
	v_and_b32_e32 v44, 0x7f800000, v43
	v_cmp_ne_u32_e32 vcc, s2, v44
                                        ; implicit-def: $vgpr44
	s_and_saveexec_b64 s[2:3], vcc
	s_xor_b64 s[2:3], exec, s[2:3]
; %bb.370:
	v_bfe_u32 v44, v43, 16, 1
	s_movk_i32 s4, 0x7fff
	v_add3_u32 v44, v43, v44, s4
                                        ; implicit-def: $vgpr43
; %bb.371:
	s_andn2_saveexec_b64 s[2:3], s[2:3]
; %bb.372:
	v_mov_b32_e32 v44, 0
	v_or_b32_e32 v45, 0x10000, v43
	v_cmp_eq_u32_sdwa vcc, v43, v44 src0_sel:WORD_0 src1_sel:DWORD
	v_cndmask_b32_e32 v44, v45, v43, vcc
; %bb.373:
	s_or_b64 exec, exec, s[2:3]
	v_and_b32_e32 v5, 0xffff0000, v5
	s_waitcnt vmcnt(2)
	v_lshlrev_b32_e32 v45, 16, v36
	v_and_b32_e32 v43, 0xffff0000, v36
	v_fma_f32 v36, v5, v45, v43
	s_mov_b32 s2, 0x7f800000
	v_and_b32_e32 v5, 0x7f800000, v36
	v_cmp_ne_u32_e32 vcc, s2, v5
                                        ; implicit-def: $vgpr5
	s_and_saveexec_b64 s[2:3], vcc
	s_xor_b64 s[2:3], exec, s[2:3]
; %bb.374:
	v_bfe_u32 v5, v36, 16, 1
	s_movk_i32 s4, 0x7fff
	v_add3_u32 v5, v36, v5, s4
                                        ; implicit-def: $vgpr36
; %bb.375:
	s_andn2_saveexec_b64 s[2:3], s[2:3]
; %bb.376:
	v_mov_b32_e32 v5, 0
	v_or_b32_e32 v46, 0x10000, v36
	v_cmp_eq_u32_sdwa vcc, v36, v5 src0_sel:WORD_0 src1_sel:DWORD
	v_cndmask_b32_e32 v5, v46, v36, vcc
; %bb.377:
	s_or_b64 exec, exec, s[2:3]
	v_and_b32_e32 v36, 0xffff0000, v37
	v_fma_f32 v37, v36, v45, v43
	s_mov_b32 s2, 0x7f800000
	v_and_b32_e32 v36, 0x7f800000, v37
	v_cmp_ne_u32_e32 vcc, s2, v36
                                        ; implicit-def: $vgpr36
	s_and_saveexec_b64 s[2:3], vcc
	s_xor_b64 s[2:3], exec, s[2:3]
; %bb.378:
	v_bfe_u32 v36, v37, 16, 1
	s_movk_i32 s4, 0x7fff
	v_add3_u32 v36, v37, v36, s4
                                        ; implicit-def: $vgpr37
; %bb.379:
	s_andn2_saveexec_b64 s[2:3], s[2:3]
; %bb.380:
	v_mov_b32_e32 v36, 0
	v_or_b32_e32 v46, 0x10000, v37
	v_cmp_eq_u32_sdwa vcc, v37, v36 src0_sel:WORD_0 src1_sel:DWORD
	v_cndmask_b32_e32 v36, v46, v37, vcc
; %bb.381:
	s_or_b64 exec, exec, s[2:3]
	v_and_b32_e32 v37, 0xffff0000, v38
	v_fma_f32 v38, v37, v45, v43
	s_mov_b32 s2, 0x7f800000
	v_and_b32_e32 v37, 0x7f800000, v38
	v_cmp_ne_u32_e32 vcc, s2, v37
                                        ; implicit-def: $vgpr37
	s_and_saveexec_b64 s[2:3], vcc
	s_xor_b64 s[2:3], exec, s[2:3]
; %bb.382:
	v_bfe_u32 v37, v38, 16, 1
	s_movk_i32 s4, 0x7fff
	v_add3_u32 v37, v38, v37, s4
                                        ; implicit-def: $vgpr38
; %bb.383:
	s_andn2_saveexec_b64 s[2:3], s[2:3]
; %bb.384:
	v_mov_b32_e32 v37, 0
	v_or_b32_e32 v46, 0x10000, v38
	v_cmp_eq_u32_sdwa vcc, v38, v37 src0_sel:WORD_0 src1_sel:DWORD
	v_cndmask_b32_e32 v37, v46, v38, vcc
; %bb.385:
	s_or_b64 exec, exec, s[2:3]
	v_and_b32_e32 v38, 0xffff0000, v39
	v_fma_f32 v39, v38, v45, v43
	s_mov_b32 s2, 0x7f800000
	v_and_b32_e32 v38, 0x7f800000, v39
	v_cmp_ne_u32_e32 vcc, s2, v38
                                        ; implicit-def: $vgpr38
	s_and_saveexec_b64 s[2:3], vcc
	s_xor_b64 s[2:3], exec, s[2:3]
; %bb.386:
	v_bfe_u32 v38, v39, 16, 1
	s_movk_i32 s4, 0x7fff
	v_add3_u32 v38, v39, v38, s4
                                        ; implicit-def: $vgpr39
; %bb.387:
	s_andn2_saveexec_b64 s[2:3], s[2:3]
; %bb.388:
	v_mov_b32_e32 v38, 0
	v_or_b32_e32 v46, 0x10000, v39
	v_cmp_eq_u32_sdwa vcc, v39, v38 src0_sel:WORD_0 src1_sel:DWORD
	v_cndmask_b32_e32 v38, v46, v39, vcc
; %bb.389:
	s_or_b64 exec, exec, s[2:3]
	v_and_b32_e32 v39, 0xffff0000, v40
	v_fma_f32 v40, v39, v45, v43
	s_mov_b32 s2, 0x7f800000
	v_and_b32_e32 v39, 0x7f800000, v40
	v_cmp_ne_u32_e32 vcc, s2, v39
                                        ; implicit-def: $vgpr39
	s_and_saveexec_b64 s[2:3], vcc
	s_xor_b64 s[2:3], exec, s[2:3]
; %bb.390:
	v_bfe_u32 v39, v40, 16, 1
	s_movk_i32 s4, 0x7fff
	v_add3_u32 v39, v40, v39, s4
                                        ; implicit-def: $vgpr40
; %bb.391:
	s_andn2_saveexec_b64 s[2:3], s[2:3]
; %bb.392:
	v_mov_b32_e32 v39, 0
	v_or_b32_e32 v46, 0x10000, v40
	v_cmp_eq_u32_sdwa vcc, v40, v39 src0_sel:WORD_0 src1_sel:DWORD
	v_cndmask_b32_e32 v39, v46, v40, vcc
; %bb.393:
	s_or_b64 exec, exec, s[2:3]
	v_and_b32_e32 v40, 0xffff0000, v41
	v_fma_f32 v41, v40, v45, v43
	s_mov_b32 s2, 0x7f800000
	v_and_b32_e32 v40, 0x7f800000, v41
	v_cmp_ne_u32_e32 vcc, s2, v40
                                        ; implicit-def: $vgpr40
	s_and_saveexec_b64 s[2:3], vcc
	s_xor_b64 s[2:3], exec, s[2:3]
; %bb.394:
	v_bfe_u32 v40, v41, 16, 1
	s_movk_i32 s4, 0x7fff
	v_add3_u32 v40, v41, v40, s4
                                        ; implicit-def: $vgpr41
; %bb.395:
	s_andn2_saveexec_b64 s[2:3], s[2:3]
; %bb.396:
	v_mov_b32_e32 v40, 0
	v_or_b32_e32 v46, 0x10000, v41
	v_cmp_eq_u32_sdwa vcc, v41, v40 src0_sel:WORD_0 src1_sel:DWORD
	v_cndmask_b32_e32 v40, v46, v41, vcc
; %bb.397:
	s_or_b64 exec, exec, s[2:3]
	v_and_b32_e32 v41, 0xffff0000, v42
	v_fma_f32 v42, v41, v45, v43
	s_mov_b32 s2, 0x7f800000
	v_and_b32_e32 v41, 0x7f800000, v42
	v_cmp_ne_u32_e32 vcc, s2, v41
                                        ; implicit-def: $vgpr41
	s_and_saveexec_b64 s[2:3], vcc
	s_xor_b64 s[2:3], exec, s[2:3]
; %bb.398:
	v_bfe_u32 v41, v42, 16, 1
	s_movk_i32 s4, 0x7fff
	v_add3_u32 v41, v42, v41, s4
                                        ; implicit-def: $vgpr42
; %bb.399:
	s_andn2_saveexec_b64 s[2:3], s[2:3]
; %bb.400:
	v_mov_b32_e32 v41, 0
	v_or_b32_e32 v46, 0x10000, v42
	v_cmp_eq_u32_sdwa vcc, v42, v41 src0_sel:WORD_0 src1_sel:DWORD
	v_cndmask_b32_e32 v41, v46, v42, vcc
; %bb.401:
	s_or_b64 exec, exec, s[2:3]
	v_and_b32_e32 v42, 0xffff0000, v44
	v_fmac_f32_e32 v43, v42, v45
	s_mov_b32 s2, 0x7f800000
	v_and_b32_e32 v42, 0x7f800000, v43
	v_cmp_ne_u32_e32 vcc, s2, v42
                                        ; implicit-def: $vgpr42
	s_and_saveexec_b64 s[2:3], vcc
	s_xor_b64 s[2:3], exec, s[2:3]
; %bb.402:
	v_bfe_u32 v42, v43, 16, 1
	s_movk_i32 s4, 0x7fff
	v_add3_u32 v42, v43, v42, s4
                                        ; implicit-def: $vgpr43
; %bb.403:
	s_andn2_saveexec_b64 s[2:3], s[2:3]
; %bb.404:
	v_mov_b32_e32 v42, 0
	v_or_b32_e32 v44, 0x10000, v43
	v_cmp_eq_u32_sdwa vcc, v43, v42 src0_sel:WORD_0 src1_sel:DWORD
	v_cndmask_b32_e32 v42, v44, v43, vcc
; %bb.405:
	s_or_b64 exec, exec, s[2:3]
	v_mov_b32_e32 v44, 0xf000f
	v_mov_b32_e32 v46, 0x43004300
	;;#ASMSTART
	v_and_or_b32 v43, v6, v44, v46
	;;#ASMEND
	v_lshrrev_b32_e32 v45, 4, v6
	v_lshrrev_b32_e32 v47, 8, v6
	;; [unrolled: 1-line block ×3, first 2 shown]
	;;#ASMSTART
	v_and_or_b32 v45, v45, v44, v46
	;;#ASMEND
	;;#ASMSTART
	v_and_or_b32 v47, v47, v44, v46
	;;#ASMEND
	;; [unrolled: 3-line block ×3, first 2 shown]
	v_lshlrev_b32_e32 v6, 16, v43
	v_add_f32_e32 v44, 0xc3080000, v6
	s_mov_b32 s2, 0x7f800000
	v_and_b32_e32 v6, 0x7f800000, v44
	v_cmp_ne_u32_e32 vcc, s2, v6
                                        ; implicit-def: $vgpr6
	s_and_saveexec_b64 s[2:3], vcc
	s_xor_b64 s[2:3], exec, s[2:3]
; %bb.406:
	v_bfe_u32 v6, v44, 16, 1
	s_movk_i32 s4, 0x7fff
	v_add3_u32 v6, v44, v6, s4
                                        ; implicit-def: $vgpr44
; %bb.407:
	s_andn2_saveexec_b64 s[2:3], s[2:3]
; %bb.408:
	v_mov_b32_e32 v6, 0
	v_or_b32_e32 v46, 0x10000, v44
	v_cmp_eq_u32_sdwa vcc, v44, v6 src0_sel:WORD_0 src1_sel:DWORD
	v_cndmask_b32_e32 v6, v46, v44, vcc
; %bb.409:
	s_or_b64 exec, exec, s[2:3]
	v_and_b32_e32 v43, 0xffff0000, v43
	v_add_f32_e32 v44, 0xc3080000, v43
	s_mov_b32 s2, 0x7f800000
	v_and_b32_e32 v43, 0x7f800000, v44
	v_cmp_ne_u32_e32 vcc, s2, v43
                                        ; implicit-def: $vgpr43
	s_and_saveexec_b64 s[2:3], vcc
	s_xor_b64 s[2:3], exec, s[2:3]
; %bb.410:
	v_bfe_u32 v43, v44, 16, 1
	s_movk_i32 s4, 0x7fff
	v_add3_u32 v43, v44, v43, s4
                                        ; implicit-def: $vgpr44
; %bb.411:
	s_andn2_saveexec_b64 s[2:3], s[2:3]
; %bb.412:
	v_mov_b32_e32 v43, 0
	v_or_b32_e32 v46, 0x10000, v44
	v_cmp_eq_u32_sdwa vcc, v44, v43 src0_sel:WORD_0 src1_sel:DWORD
	v_cndmask_b32_e32 v43, v46, v44, vcc
; %bb.413:
	s_or_b64 exec, exec, s[2:3]
	v_lshlrev_b32_e32 v44, 16, v45
	v_add_f32_e32 v46, 0xc3080000, v44
	s_mov_b32 s2, 0x7f800000
	v_and_b32_e32 v44, 0x7f800000, v46
	v_cmp_ne_u32_e32 vcc, s2, v44
                                        ; implicit-def: $vgpr44
	s_and_saveexec_b64 s[2:3], vcc
	s_xor_b64 s[2:3], exec, s[2:3]
; %bb.414:
	v_bfe_u32 v44, v46, 16, 1
	s_movk_i32 s4, 0x7fff
	v_add3_u32 v44, v46, v44, s4
                                        ; implicit-def: $vgpr46
; %bb.415:
	s_andn2_saveexec_b64 s[2:3], s[2:3]
; %bb.416:
	v_mov_b32_e32 v44, 0
	v_or_b32_e32 v48, 0x10000, v46
	v_cmp_eq_u32_sdwa vcc, v46, v44 src0_sel:WORD_0 src1_sel:DWORD
	v_cndmask_b32_e32 v44, v48, v46, vcc
; %bb.417:
	s_or_b64 exec, exec, s[2:3]
	v_and_b32_e32 v45, 0xffff0000, v45
	v_add_f32_e32 v46, 0xc3080000, v45
	s_mov_b32 s2, 0x7f800000
	v_and_b32_e32 v45, 0x7f800000, v46
	v_cmp_ne_u32_e32 vcc, s2, v45
                                        ; implicit-def: $vgpr45
	s_and_saveexec_b64 s[2:3], vcc
	s_xor_b64 s[2:3], exec, s[2:3]
; %bb.418:
	v_bfe_u32 v45, v46, 16, 1
	s_movk_i32 s4, 0x7fff
	v_add3_u32 v45, v46, v45, s4
                                        ; implicit-def: $vgpr46
; %bb.419:
	s_andn2_saveexec_b64 s[2:3], s[2:3]
; %bb.420:
	v_mov_b32_e32 v45, 0
	v_or_b32_e32 v48, 0x10000, v46
	v_cmp_eq_u32_sdwa vcc, v46, v45 src0_sel:WORD_0 src1_sel:DWORD
	v_cndmask_b32_e32 v45, v48, v46, vcc
; %bb.421:
	s_or_b64 exec, exec, s[2:3]
	v_lshlrev_b32_e32 v46, 16, v47
	v_add_f32_e32 v48, 0xc3080000, v46
	s_mov_b32 s2, 0x7f800000
	v_and_b32_e32 v46, 0x7f800000, v48
	v_cmp_ne_u32_e32 vcc, s2, v46
                                        ; implicit-def: $vgpr46
	s_and_saveexec_b64 s[2:3], vcc
	s_xor_b64 s[2:3], exec, s[2:3]
; %bb.422:
	v_bfe_u32 v46, v48, 16, 1
	s_movk_i32 s4, 0x7fff
	v_add3_u32 v46, v48, v46, s4
                                        ; implicit-def: $vgpr48
; %bb.423:
	s_andn2_saveexec_b64 s[2:3], s[2:3]
; %bb.424:
	v_mov_b32_e32 v46, 0
	v_or_b32_e32 v50, 0x10000, v48
	v_cmp_eq_u32_sdwa vcc, v48, v46 src0_sel:WORD_0 src1_sel:DWORD
	v_cndmask_b32_e32 v46, v50, v48, vcc
; %bb.425:
	s_or_b64 exec, exec, s[2:3]
	v_and_b32_e32 v47, 0xffff0000, v47
	v_add_f32_e32 v48, 0xc3080000, v47
	s_mov_b32 s2, 0x7f800000
	v_and_b32_e32 v47, 0x7f800000, v48
	v_cmp_ne_u32_e32 vcc, s2, v47
                                        ; implicit-def: $vgpr47
	s_and_saveexec_b64 s[2:3], vcc
	s_xor_b64 s[2:3], exec, s[2:3]
; %bb.426:
	v_bfe_u32 v47, v48, 16, 1
	s_movk_i32 s4, 0x7fff
	v_add3_u32 v47, v48, v47, s4
                                        ; implicit-def: $vgpr48
; %bb.427:
	s_andn2_saveexec_b64 s[2:3], s[2:3]
; %bb.428:
	v_mov_b32_e32 v47, 0
	v_or_b32_e32 v50, 0x10000, v48
	v_cmp_eq_u32_sdwa vcc, v48, v47 src0_sel:WORD_0 src1_sel:DWORD
	v_cndmask_b32_e32 v47, v50, v48, vcc
; %bb.429:
	s_or_b64 exec, exec, s[2:3]
	v_lshlrev_b32_e32 v48, 16, v49
	v_add_f32_e32 v50, 0xc3080000, v48
	s_mov_b32 s2, 0x7f800000
	v_and_b32_e32 v48, 0x7f800000, v50
	v_cmp_ne_u32_e32 vcc, s2, v48
                                        ; implicit-def: $vgpr48
	s_and_saveexec_b64 s[2:3], vcc
	s_xor_b64 s[2:3], exec, s[2:3]
; %bb.430:
	v_bfe_u32 v48, v50, 16, 1
	s_movk_i32 s4, 0x7fff
	v_add3_u32 v48, v50, v48, s4
                                        ; implicit-def: $vgpr50
; %bb.431:
	s_andn2_saveexec_b64 s[2:3], s[2:3]
; %bb.432:
	v_mov_b32_e32 v48, 0
	v_or_b32_e32 v51, 0x10000, v50
	v_cmp_eq_u32_sdwa vcc, v50, v48 src0_sel:WORD_0 src1_sel:DWORD
	v_cndmask_b32_e32 v48, v51, v50, vcc
; %bb.433:
	s_or_b64 exec, exec, s[2:3]
	v_and_b32_e32 v49, 0xffff0000, v49
	v_add_f32_e32 v49, 0xc3080000, v49
	s_mov_b32 s2, 0x7f800000
	v_and_b32_e32 v50, 0x7f800000, v49
	v_cmp_ne_u32_e32 vcc, s2, v50
                                        ; implicit-def: $vgpr50
	s_and_saveexec_b64 s[2:3], vcc
	s_xor_b64 s[2:3], exec, s[2:3]
; %bb.434:
	v_bfe_u32 v50, v49, 16, 1
	s_movk_i32 s4, 0x7fff
	v_add3_u32 v50, v49, v50, s4
                                        ; implicit-def: $vgpr49
; %bb.435:
	s_andn2_saveexec_b64 s[2:3], s[2:3]
; %bb.436:
	v_mov_b32_e32 v50, 0
	v_or_b32_e32 v51, 0x10000, v49
	v_cmp_eq_u32_sdwa vcc, v49, v50 src0_sel:WORD_0 src1_sel:DWORD
	v_cndmask_b32_e32 v50, v51, v49, vcc
; %bb.437:
	s_or_b64 exec, exec, s[2:3]
	v_and_b32_e32 v6, 0xffff0000, v6
	s_waitcnt vmcnt(1)
	v_lshlrev_b32_e32 v51, 16, v35
	v_and_b32_e32 v49, 0xffff0000, v35
	v_fma_f32 v35, v6, v51, v49
	s_mov_b32 s2, 0x7f800000
	v_and_b32_e32 v6, 0x7f800000, v35
	v_cmp_ne_u32_e32 vcc, s2, v6
                                        ; implicit-def: $vgpr6
	s_and_saveexec_b64 s[2:3], vcc
	s_xor_b64 s[2:3], exec, s[2:3]
; %bb.438:
	v_bfe_u32 v6, v35, 16, 1
	s_movk_i32 s4, 0x7fff
	v_add3_u32 v6, v35, v6, s4
                                        ; implicit-def: $vgpr35
; %bb.439:
	s_andn2_saveexec_b64 s[2:3], s[2:3]
; %bb.440:
	v_mov_b32_e32 v6, 0
	v_or_b32_e32 v52, 0x10000, v35
	v_cmp_eq_u32_sdwa vcc, v35, v6 src0_sel:WORD_0 src1_sel:DWORD
	v_cndmask_b32_e32 v6, v52, v35, vcc
; %bb.441:
	s_or_b64 exec, exec, s[2:3]
	v_and_b32_e32 v35, 0xffff0000, v43
	v_fma_f32 v43, v35, v51, v49
	s_mov_b32 s2, 0x7f800000
	v_and_b32_e32 v35, 0x7f800000, v43
	v_cmp_ne_u32_e32 vcc, s2, v35
                                        ; implicit-def: $vgpr35
	s_and_saveexec_b64 s[2:3], vcc
	s_xor_b64 s[2:3], exec, s[2:3]
; %bb.442:
	v_bfe_u32 v35, v43, 16, 1
	s_movk_i32 s4, 0x7fff
	v_add3_u32 v35, v43, v35, s4
                                        ; implicit-def: $vgpr43
; %bb.443:
	s_andn2_saveexec_b64 s[2:3], s[2:3]
; %bb.444:
	v_mov_b32_e32 v35, 0
	v_or_b32_e32 v52, 0x10000, v43
	v_cmp_eq_u32_sdwa vcc, v43, v35 src0_sel:WORD_0 src1_sel:DWORD
	v_cndmask_b32_e32 v35, v52, v43, vcc
; %bb.445:
	s_or_b64 exec, exec, s[2:3]
	v_and_b32_e32 v43, 0xffff0000, v44
	v_fma_f32 v44, v43, v51, v49
	s_mov_b32 s2, 0x7f800000
	v_and_b32_e32 v43, 0x7f800000, v44
	v_cmp_ne_u32_e32 vcc, s2, v43
                                        ; implicit-def: $vgpr43
	s_and_saveexec_b64 s[2:3], vcc
	s_xor_b64 s[2:3], exec, s[2:3]
; %bb.446:
	v_bfe_u32 v43, v44, 16, 1
	s_movk_i32 s4, 0x7fff
	v_add3_u32 v43, v44, v43, s4
                                        ; implicit-def: $vgpr44
; %bb.447:
	s_andn2_saveexec_b64 s[2:3], s[2:3]
; %bb.448:
	v_mov_b32_e32 v43, 0
	v_or_b32_e32 v52, 0x10000, v44
	v_cmp_eq_u32_sdwa vcc, v44, v43 src0_sel:WORD_0 src1_sel:DWORD
	v_cndmask_b32_e32 v43, v52, v44, vcc
; %bb.449:
	s_or_b64 exec, exec, s[2:3]
	v_and_b32_e32 v44, 0xffff0000, v45
	v_fma_f32 v45, v44, v51, v49
	s_mov_b32 s2, 0x7f800000
	v_and_b32_e32 v44, 0x7f800000, v45
	v_cmp_ne_u32_e32 vcc, s2, v44
                                        ; implicit-def: $vgpr44
	s_and_saveexec_b64 s[2:3], vcc
	s_xor_b64 s[2:3], exec, s[2:3]
; %bb.450:
	v_bfe_u32 v44, v45, 16, 1
	s_movk_i32 s4, 0x7fff
	v_add3_u32 v44, v45, v44, s4
                                        ; implicit-def: $vgpr45
; %bb.451:
	s_andn2_saveexec_b64 s[2:3], s[2:3]
; %bb.452:
	v_mov_b32_e32 v44, 0
	v_or_b32_e32 v52, 0x10000, v45
	v_cmp_eq_u32_sdwa vcc, v45, v44 src0_sel:WORD_0 src1_sel:DWORD
	v_cndmask_b32_e32 v44, v52, v45, vcc
; %bb.453:
	s_or_b64 exec, exec, s[2:3]
	v_and_b32_e32 v45, 0xffff0000, v46
	v_fma_f32 v46, v45, v51, v49
	s_mov_b32 s2, 0x7f800000
	v_and_b32_e32 v45, 0x7f800000, v46
	v_cmp_ne_u32_e32 vcc, s2, v45
                                        ; implicit-def: $vgpr45
	s_and_saveexec_b64 s[2:3], vcc
	s_xor_b64 s[2:3], exec, s[2:3]
; %bb.454:
	v_bfe_u32 v45, v46, 16, 1
	s_movk_i32 s4, 0x7fff
	v_add3_u32 v45, v46, v45, s4
                                        ; implicit-def: $vgpr46
; %bb.455:
	s_andn2_saveexec_b64 s[2:3], s[2:3]
; %bb.456:
	v_mov_b32_e32 v45, 0
	v_or_b32_e32 v52, 0x10000, v46
	v_cmp_eq_u32_sdwa vcc, v46, v45 src0_sel:WORD_0 src1_sel:DWORD
	v_cndmask_b32_e32 v45, v52, v46, vcc
; %bb.457:
	s_or_b64 exec, exec, s[2:3]
	v_and_b32_e32 v46, 0xffff0000, v47
	v_fma_f32 v47, v46, v51, v49
	s_mov_b32 s2, 0x7f800000
	v_and_b32_e32 v46, 0x7f800000, v47
	v_cmp_ne_u32_e32 vcc, s2, v46
                                        ; implicit-def: $vgpr46
	s_and_saveexec_b64 s[2:3], vcc
	s_xor_b64 s[2:3], exec, s[2:3]
; %bb.458:
	v_bfe_u32 v46, v47, 16, 1
	s_movk_i32 s4, 0x7fff
	v_add3_u32 v46, v47, v46, s4
                                        ; implicit-def: $vgpr47
; %bb.459:
	s_andn2_saveexec_b64 s[2:3], s[2:3]
; %bb.460:
	v_mov_b32_e32 v46, 0
	v_or_b32_e32 v52, 0x10000, v47
	v_cmp_eq_u32_sdwa vcc, v47, v46 src0_sel:WORD_0 src1_sel:DWORD
	v_cndmask_b32_e32 v46, v52, v47, vcc
; %bb.461:
	s_or_b64 exec, exec, s[2:3]
	v_and_b32_e32 v47, 0xffff0000, v48
	v_fma_f32 v48, v47, v51, v49
	s_mov_b32 s2, 0x7f800000
	v_and_b32_e32 v47, 0x7f800000, v48
	v_cmp_ne_u32_e32 vcc, s2, v47
                                        ; implicit-def: $vgpr47
	s_and_saveexec_b64 s[2:3], vcc
	s_xor_b64 s[2:3], exec, s[2:3]
; %bb.462:
	v_bfe_u32 v47, v48, 16, 1
	s_movk_i32 s4, 0x7fff
	v_add3_u32 v47, v48, v47, s4
                                        ; implicit-def: $vgpr48
; %bb.463:
	s_andn2_saveexec_b64 s[2:3], s[2:3]
; %bb.464:
	v_mov_b32_e32 v47, 0
	v_or_b32_e32 v52, 0x10000, v48
	v_cmp_eq_u32_sdwa vcc, v48, v47 src0_sel:WORD_0 src1_sel:DWORD
	v_cndmask_b32_e32 v47, v52, v48, vcc
; %bb.465:
	s_or_b64 exec, exec, s[2:3]
	v_and_b32_e32 v48, 0xffff0000, v50
	v_fmac_f32_e32 v49, v48, v51
	s_mov_b32 s2, 0x7f800000
	v_and_b32_e32 v48, 0x7f800000, v49
	v_cmp_ne_u32_e32 vcc, s2, v48
                                        ; implicit-def: $vgpr48
	s_and_saveexec_b64 s[2:3], vcc
	s_xor_b64 s[2:3], exec, s[2:3]
; %bb.466:
	v_bfe_u32 v48, v49, 16, 1
	s_movk_i32 s4, 0x7fff
	v_add3_u32 v48, v49, v48, s4
                                        ; implicit-def: $vgpr49
; %bb.467:
	s_andn2_saveexec_b64 s[2:3], s[2:3]
; %bb.468:
	v_mov_b32_e32 v48, 0
	v_or_b32_e32 v50, 0x10000, v49
	v_cmp_eq_u32_sdwa vcc, v49, v48 src0_sel:WORD_0 src1_sel:DWORD
	v_cndmask_b32_e32 v48, v50, v49, vcc
; %bb.469:
	s_or_b64 exec, exec, s[2:3]
	v_mov_b32_e32 v49, 0xf000f
	v_mov_b32_e32 v51, 0x43004300
	;;#ASMSTART
	v_and_or_b32 v50, v7, v49, v51
	;;#ASMEND
	v_lshrrev_b32_e32 v52, 4, v7
	v_lshrrev_b32_e32 v53, 8, v7
	;; [unrolled: 1-line block ×3, first 2 shown]
	;;#ASMSTART
	v_and_or_b32 v52, v52, v49, v51
	;;#ASMEND
	;;#ASMSTART
	v_and_or_b32 v54, v53, v49, v51
	;;#ASMEND
	;; [unrolled: 3-line block ×3, first 2 shown]
	v_lshlrev_b32_e32 v7, 16, v50
	v_add_f32_e32 v51, 0xc3080000, v7
	s_mov_b32 s2, 0x7f800000
	v_and_b32_e32 v7, 0x7f800000, v51
	v_cmp_ne_u32_e32 vcc, s2, v7
                                        ; implicit-def: $vgpr7
	s_and_saveexec_b64 s[2:3], vcc
	s_xor_b64 s[2:3], exec, s[2:3]
; %bb.470:
	v_bfe_u32 v7, v51, 16, 1
	s_movk_i32 s4, 0x7fff
	v_add3_u32 v7, v51, v7, s4
                                        ; implicit-def: $vgpr51
; %bb.471:
	s_andn2_saveexec_b64 s[2:3], s[2:3]
; %bb.472:
	v_mov_b32_e32 v7, 0
	v_or_b32_e32 v53, 0x10000, v51
	v_cmp_eq_u32_sdwa vcc, v51, v7 src0_sel:WORD_0 src1_sel:DWORD
	v_cndmask_b32_e32 v7, v53, v51, vcc
; %bb.473:
	s_or_b64 exec, exec, s[2:3]
	v_and_b32_e32 v50, 0xffff0000, v50
	v_add_f32_e32 v51, 0xc3080000, v50
	s_mov_b32 s2, 0x7f800000
	v_and_b32_e32 v50, 0x7f800000, v51
	v_cmp_ne_u32_e32 vcc, s2, v50
                                        ; implicit-def: $vgpr50
	s_and_saveexec_b64 s[2:3], vcc
	s_xor_b64 s[2:3], exec, s[2:3]
; %bb.474:
	v_bfe_u32 v50, v51, 16, 1
	s_movk_i32 s4, 0x7fff
	v_add3_u32 v50, v51, v50, s4
                                        ; implicit-def: $vgpr51
; %bb.475:
	s_andn2_saveexec_b64 s[2:3], s[2:3]
; %bb.476:
	v_mov_b32_e32 v50, 0
	v_or_b32_e32 v53, 0x10000, v51
	v_cmp_eq_u32_sdwa vcc, v51, v50 src0_sel:WORD_0 src1_sel:DWORD
	v_cndmask_b32_e32 v50, v53, v51, vcc
; %bb.477:
	s_or_b64 exec, exec, s[2:3]
	v_lshlrev_b32_e32 v51, 16, v52
	v_add_f32_e32 v53, 0xc3080000, v51
	s_mov_b32 s2, 0x7f800000
	v_and_b32_e32 v51, 0x7f800000, v53
	v_cmp_ne_u32_e32 vcc, s2, v51
                                        ; implicit-def: $vgpr51
	s_and_saveexec_b64 s[2:3], vcc
	s_xor_b64 s[2:3], exec, s[2:3]
; %bb.478:
	v_bfe_u32 v51, v53, 16, 1
	s_movk_i32 s4, 0x7fff
	v_add3_u32 v51, v53, v51, s4
                                        ; implicit-def: $vgpr53
; %bb.479:
	s_andn2_saveexec_b64 s[2:3], s[2:3]
; %bb.480:
	v_mov_b32_e32 v51, 0
	v_or_b32_e32 v55, 0x10000, v53
	v_cmp_eq_u32_sdwa vcc, v53, v51 src0_sel:WORD_0 src1_sel:DWORD
	v_cndmask_b32_e32 v51, v55, v53, vcc
; %bb.481:
	s_or_b64 exec, exec, s[2:3]
	v_and_b32_e32 v52, 0xffff0000, v52
	v_add_f32_e32 v53, 0xc3080000, v52
	s_mov_b32 s2, 0x7f800000
	v_and_b32_e32 v52, 0x7f800000, v53
	v_cmp_ne_u32_e32 vcc, s2, v52
                                        ; implicit-def: $vgpr52
	s_and_saveexec_b64 s[2:3], vcc
	s_xor_b64 s[2:3], exec, s[2:3]
; %bb.482:
	v_bfe_u32 v52, v53, 16, 1
	s_movk_i32 s4, 0x7fff
	v_add3_u32 v52, v53, v52, s4
                                        ; implicit-def: $vgpr53
; %bb.483:
	s_andn2_saveexec_b64 s[2:3], s[2:3]
; %bb.484:
	v_mov_b32_e32 v52, 0
	v_or_b32_e32 v55, 0x10000, v53
	v_cmp_eq_u32_sdwa vcc, v53, v52 src0_sel:WORD_0 src1_sel:DWORD
	v_cndmask_b32_e32 v52, v55, v53, vcc
; %bb.485:
	s_or_b64 exec, exec, s[2:3]
	v_lshlrev_b32_e32 v53, 16, v54
	v_add_f32_e32 v55, 0xc3080000, v53
	s_mov_b32 s2, 0x7f800000
	v_and_b32_e32 v53, 0x7f800000, v55
	v_cmp_ne_u32_e32 vcc, s2, v53
                                        ; implicit-def: $vgpr53
	s_and_saveexec_b64 s[2:3], vcc
	s_xor_b64 s[2:3], exec, s[2:3]
; %bb.486:
	v_bfe_u32 v53, v55, 16, 1
	s_movk_i32 s4, 0x7fff
	v_add3_u32 v53, v55, v53, s4
                                        ; implicit-def: $vgpr55
; %bb.487:
	s_andn2_saveexec_b64 s[2:3], s[2:3]
; %bb.488:
	v_mov_b32_e32 v53, 0
	v_or_b32_e32 v56, 0x10000, v55
	v_cmp_eq_u32_sdwa vcc, v55, v53 src0_sel:WORD_0 src1_sel:DWORD
	v_cndmask_b32_e32 v53, v56, v55, vcc
; %bb.489:
	s_or_b64 exec, exec, s[2:3]
	v_and_b32_e32 v54, 0xffff0000, v54
	v_add_f32_e32 v55, 0xc3080000, v54
	s_mov_b32 s2, 0x7f800000
	v_and_b32_e32 v54, 0x7f800000, v55
	v_cmp_ne_u32_e32 vcc, s2, v54
                                        ; implicit-def: $vgpr54
	s_and_saveexec_b64 s[2:3], vcc
	s_xor_b64 s[2:3], exec, s[2:3]
; %bb.490:
	v_bfe_u32 v54, v55, 16, 1
	s_movk_i32 s4, 0x7fff
	v_add3_u32 v54, v55, v54, s4
                                        ; implicit-def: $vgpr55
; %bb.491:
	s_andn2_saveexec_b64 s[2:3], s[2:3]
; %bb.492:
	v_mov_b32_e32 v54, 0
	v_or_b32_e32 v56, 0x10000, v55
	v_cmp_eq_u32_sdwa vcc, v55, v54 src0_sel:WORD_0 src1_sel:DWORD
	v_cndmask_b32_e32 v54, v56, v55, vcc
; %bb.493:
	s_or_b64 exec, exec, s[2:3]
	v_lshlrev_b32_e32 v55, 16, v49
	v_add_f32_e32 v56, 0xc3080000, v55
	s_mov_b32 s2, 0x7f800000
	v_and_b32_e32 v55, 0x7f800000, v56
	v_cmp_ne_u32_e32 vcc, s2, v55
                                        ; implicit-def: $vgpr55
	s_and_saveexec_b64 s[2:3], vcc
	s_xor_b64 s[2:3], exec, s[2:3]
; %bb.494:
	v_bfe_u32 v55, v56, 16, 1
	s_movk_i32 s4, 0x7fff
	v_add3_u32 v55, v56, v55, s4
                                        ; implicit-def: $vgpr56
; %bb.495:
	s_andn2_saveexec_b64 s[2:3], s[2:3]
; %bb.496:
	v_mov_b32_e32 v55, 0
	v_or_b32_e32 v57, 0x10000, v56
	v_cmp_eq_u32_sdwa vcc, v56, v55 src0_sel:WORD_0 src1_sel:DWORD
	v_cndmask_b32_e32 v55, v57, v56, vcc
; %bb.497:
	s_or_b64 exec, exec, s[2:3]
	v_and_b32_e32 v49, 0xffff0000, v49
	v_add_f32_e32 v49, 0xc3080000, v49
	s_mov_b32 s2, 0x7f800000
	v_and_b32_e32 v56, 0x7f800000, v49
	v_cmp_ne_u32_e32 vcc, s2, v56
                                        ; implicit-def: $vgpr56
	s_and_saveexec_b64 s[2:3], vcc
	s_xor_b64 s[2:3], exec, s[2:3]
; %bb.498:
	v_bfe_u32 v56, v49, 16, 1
	s_movk_i32 s4, 0x7fff
	v_add3_u32 v56, v49, v56, s4
                                        ; implicit-def: $vgpr49
; %bb.499:
	s_andn2_saveexec_b64 s[2:3], s[2:3]
; %bb.500:
	v_mov_b32_e32 v56, 0
	v_or_b32_e32 v57, 0x10000, v49
	v_cmp_eq_u32_sdwa vcc, v49, v56 src0_sel:WORD_0 src1_sel:DWORD
	v_cndmask_b32_e32 v56, v57, v49, vcc
; %bb.501:
	s_or_b64 exec, exec, s[2:3]
	v_and_b32_e32 v7, 0xffff0000, v7
	s_waitcnt vmcnt(0)
	v_lshlrev_b32_e32 v57, 16, v24
	v_and_b32_e32 v49, 0xffff0000, v24
	v_fma_f32 v24, v7, v57, v49
	s_mov_b32 s2, 0x7f800000
	v_and_b32_e32 v7, 0x7f800000, v24
	v_cmp_ne_u32_e32 vcc, s2, v7
                                        ; implicit-def: $vgpr7
	s_and_saveexec_b64 s[2:3], vcc
	s_xor_b64 s[2:3], exec, s[2:3]
; %bb.502:
	v_bfe_u32 v7, v24, 16, 1
	s_movk_i32 s4, 0x7fff
	v_add3_u32 v7, v24, v7, s4
                                        ; implicit-def: $vgpr24
; %bb.503:
	s_andn2_saveexec_b64 s[2:3], s[2:3]
; %bb.504:
	v_mov_b32_e32 v7, 0
	v_or_b32_e32 v58, 0x10000, v24
	v_cmp_eq_u32_sdwa vcc, v24, v7 src0_sel:WORD_0 src1_sel:DWORD
	v_cndmask_b32_e32 v7, v58, v24, vcc
; %bb.505:
	s_or_b64 exec, exec, s[2:3]
	v_and_b32_e32 v24, 0xffff0000, v50
	v_fma_f32 v50, v24, v57, v49
	s_mov_b32 s2, 0x7f800000
	v_and_b32_e32 v24, 0x7f800000, v50
	v_cmp_ne_u32_e32 vcc, s2, v24
                                        ; implicit-def: $vgpr24
	s_and_saveexec_b64 s[2:3], vcc
	s_xor_b64 s[2:3], exec, s[2:3]
; %bb.506:
	v_bfe_u32 v24, v50, 16, 1
	s_movk_i32 s4, 0x7fff
	v_add3_u32 v24, v50, v24, s4
                                        ; implicit-def: $vgpr50
; %bb.507:
	s_andn2_saveexec_b64 s[2:3], s[2:3]
; %bb.508:
	v_mov_b32_e32 v24, 0
	v_or_b32_e32 v58, 0x10000, v50
	v_cmp_eq_u32_sdwa vcc, v50, v24 src0_sel:WORD_0 src1_sel:DWORD
	v_cndmask_b32_e32 v24, v58, v50, vcc
; %bb.509:
	s_or_b64 exec, exec, s[2:3]
	v_and_b32_e32 v50, 0xffff0000, v51
	v_fma_f32 v51, v50, v57, v49
	s_mov_b32 s2, 0x7f800000
	v_and_b32_e32 v50, 0x7f800000, v51
	v_cmp_ne_u32_e32 vcc, s2, v50
                                        ; implicit-def: $vgpr50
	s_and_saveexec_b64 s[2:3], vcc
	s_xor_b64 s[2:3], exec, s[2:3]
; %bb.510:
	v_bfe_u32 v50, v51, 16, 1
	s_movk_i32 s4, 0x7fff
	v_add3_u32 v50, v51, v50, s4
                                        ; implicit-def: $vgpr51
; %bb.511:
	s_andn2_saveexec_b64 s[2:3], s[2:3]
; %bb.512:
	v_mov_b32_e32 v50, 0
	v_or_b32_e32 v58, 0x10000, v51
	v_cmp_eq_u32_sdwa vcc, v51, v50 src0_sel:WORD_0 src1_sel:DWORD
	v_cndmask_b32_e32 v50, v58, v51, vcc
; %bb.513:
	s_or_b64 exec, exec, s[2:3]
	v_and_b32_e32 v51, 0xffff0000, v52
	v_fma_f32 v52, v51, v57, v49
	s_mov_b32 s2, 0x7f800000
	v_and_b32_e32 v51, 0x7f800000, v52
	v_cmp_ne_u32_e32 vcc, s2, v51
                                        ; implicit-def: $vgpr51
	s_and_saveexec_b64 s[2:3], vcc
	s_xor_b64 s[2:3], exec, s[2:3]
; %bb.514:
	v_bfe_u32 v51, v52, 16, 1
	s_movk_i32 s4, 0x7fff
	v_add3_u32 v51, v52, v51, s4
                                        ; implicit-def: $vgpr52
; %bb.515:
	s_andn2_saveexec_b64 s[2:3], s[2:3]
; %bb.516:
	v_mov_b32_e32 v51, 0
	v_or_b32_e32 v58, 0x10000, v52
	v_cmp_eq_u32_sdwa vcc, v52, v51 src0_sel:WORD_0 src1_sel:DWORD
	v_cndmask_b32_e32 v51, v58, v52, vcc
; %bb.517:
	s_or_b64 exec, exec, s[2:3]
	v_and_b32_e32 v52, 0xffff0000, v53
	v_fma_f32 v53, v52, v57, v49
	s_mov_b32 s2, 0x7f800000
	v_and_b32_e32 v52, 0x7f800000, v53
	v_cmp_ne_u32_e32 vcc, s2, v52
                                        ; implicit-def: $vgpr52
	s_and_saveexec_b64 s[2:3], vcc
	s_xor_b64 s[2:3], exec, s[2:3]
; %bb.518:
	v_bfe_u32 v52, v53, 16, 1
	s_movk_i32 s4, 0x7fff
	v_add3_u32 v52, v53, v52, s4
                                        ; implicit-def: $vgpr53
; %bb.519:
	s_andn2_saveexec_b64 s[2:3], s[2:3]
; %bb.520:
	v_mov_b32_e32 v52, 0
	v_or_b32_e32 v58, 0x10000, v53
	v_cmp_eq_u32_sdwa vcc, v53, v52 src0_sel:WORD_0 src1_sel:DWORD
	v_cndmask_b32_e32 v52, v58, v53, vcc
; %bb.521:
	s_or_b64 exec, exec, s[2:3]
	v_and_b32_e32 v53, 0xffff0000, v54
	v_fma_f32 v54, v53, v57, v49
	s_mov_b32 s2, 0x7f800000
	v_and_b32_e32 v53, 0x7f800000, v54
	v_cmp_ne_u32_e32 vcc, s2, v53
                                        ; implicit-def: $vgpr53
	s_and_saveexec_b64 s[2:3], vcc
	s_xor_b64 s[2:3], exec, s[2:3]
; %bb.522:
	v_bfe_u32 v53, v54, 16, 1
	s_movk_i32 s4, 0x7fff
	v_add3_u32 v53, v54, v53, s4
                                        ; implicit-def: $vgpr54
; %bb.523:
	s_andn2_saveexec_b64 s[2:3], s[2:3]
; %bb.524:
	v_mov_b32_e32 v53, 0
	v_or_b32_e32 v58, 0x10000, v54
	v_cmp_eq_u32_sdwa vcc, v54, v53 src0_sel:WORD_0 src1_sel:DWORD
	v_cndmask_b32_e32 v53, v58, v54, vcc
; %bb.525:
	s_or_b64 exec, exec, s[2:3]
	v_and_b32_e32 v54, 0xffff0000, v55
	v_fma_f32 v55, v54, v57, v49
	s_mov_b32 s2, 0x7f800000
	v_and_b32_e32 v54, 0x7f800000, v55
	v_cmp_ne_u32_e32 vcc, s2, v54
                                        ; implicit-def: $vgpr54
	s_and_saveexec_b64 s[2:3], vcc
	s_xor_b64 s[2:3], exec, s[2:3]
; %bb.526:
	v_bfe_u32 v54, v55, 16, 1
	s_movk_i32 s4, 0x7fff
	v_add3_u32 v54, v55, v54, s4
                                        ; implicit-def: $vgpr55
; %bb.527:
	s_andn2_saveexec_b64 s[2:3], s[2:3]
; %bb.528:
	v_mov_b32_e32 v54, 0
	v_or_b32_e32 v58, 0x10000, v55
	v_cmp_eq_u32_sdwa vcc, v55, v54 src0_sel:WORD_0 src1_sel:DWORD
	v_cndmask_b32_e32 v54, v58, v55, vcc
; %bb.529:
	s_or_b64 exec, exec, s[2:3]
	v_and_b32_e32 v55, 0xffff0000, v56
	v_fmac_f32_e32 v49, v55, v57
	s_mov_b32 s2, 0x7f800000
	v_and_b32_e32 v55, 0x7f800000, v49
	v_cmp_ne_u32_e32 vcc, s2, v55
                                        ; implicit-def: $vgpr55
	s_and_saveexec_b64 s[2:3], vcc
	s_xor_b64 s[2:3], exec, s[2:3]
; %bb.530:
	v_bfe_u32 v55, v49, 16, 1
	s_movk_i32 s4, 0x7fff
	v_add3_u32 v55, v49, v55, s4
                                        ; implicit-def: $vgpr49
; %bb.531:
	s_andn2_saveexec_b64 s[2:3], s[2:3]
; %bb.532:
	v_mov_b32_e32 v55, 0
	v_or_b32_e32 v56, 0x10000, v49
	v_cmp_eq_u32_sdwa vcc, v49, v55 src0_sel:WORD_0 src1_sel:DWORD
	v_cndmask_b32_e32 v55, v56, v49, vcc
; %bb.533:
	s_or_b64 exec, exec, s[2:3]
	s_mov_b32 s2, 0x3020706
	v_perm_b32 v57, v29, v30, s2
	v_perm_b32 v56, v4, v25, s2
	;; [unrolled: 1-line block ×4, first 2 shown]
	v_mfma_f32_16x16x16bf16_1k v[56:59], v[14:15], v[56:57], 0
	v_perm_b32 v15, v33, v34, s2
	v_perm_b32 v14, v31, v32, s2
	;; [unrolled: 1-line block ×4, first 2 shown]
	v_mfma_f32_16x16x16bf16_1k v[12:15], v[12:13], v[14:15], 0
	s_nop 5
	v_pk_add_f32 v[2:3], v[2:3], v[58:59]
	v_pk_add_f32 v[0:1], v[0:1], v[56:57]
	v_mfma_f32_16x16x16bf16_1k v[30:33], v[8:9], v[30:31], 0
	s_nop 1
	v_pk_add_f32 v[2:3], v[2:3], v[14:15]
	v_perm_b32 v9, v50, v51, s2
	v_perm_b32 v8, v7, v24, s2
	v_pk_add_f32 v[0:1], v[0:1], v[12:13]
	v_mfma_f32_16x16x16bf16_1k v[36:39], v[18:19], v[4:5], 0
	v_perm_b32 v5, v43, v44, s2
	v_perm_b32 v4, v6, v35, s2
	s_nop 1
	v_pk_add_f32 v[2:3], v[2:3], v[32:33]
	v_pk_add_f32 v[12:13], v[0:1], v[30:31]
	v_perm_b32 v19, v54, v55, s2
	v_perm_b32 v18, v52, v53, s2
	s_nop 2
	v_pk_add_f32 v[14:15], v[2:3], v[38:39]
	v_mfma_f32_16x16x16bf16_1k v[40:43], v[22:23], v[4:5], 0
	v_perm_b32 v5, v47, v48, s2
	v_perm_b32 v4, v45, v46, s2
	s_nop 1
	v_mfma_f32_16x16x16bf16_1k v[4:7], v[20:21], v[4:5], 0
	v_mfma_f32_16x16x16bf16_1k v[0:3], v[10:11], v[8:9], 0
	v_pk_add_f32 v[8:9], v[12:13], v[36:37]
	s_nop 3
	v_pk_add_f32 v[10:11], v[14:15], v[42:43]
	v_pk_add_f32 v[8:9], v[8:9], v[40:41]
	s_nop 2
	v_pk_add_f32 v[6:7], v[10:11], v[6:7]
	v_pk_add_f32 v[4:5], v[8:9], v[4:5]
	;; [unrolled: 1-line block ×4, first 2 shown]
	v_mfma_f32_16x16x16bf16_1k v[0:3], v[16:17], v[18:19], 0
	s_nop 7
	s_nop 2
	v_pk_add_f32 v[2:3], v[6:7], v[2:3]
	v_pk_add_f32 v[0:1], v[4:5], v[0:1]
.LBB2_534:
	s_or_b64 exec, exec, s[0:1]
	v_lshlrev_b32_e32 v29, 4, v26
	v_lshl_add_u32 v4, v28, 10, v29
	v_cmp_eq_u32_e32 vcc, 0, v28
	ds_write_b128 v4, v[0:3]
	s_waitcnt lgkmcnt(0)
	s_barrier
	s_and_saveexec_b64 s[0:1], vcc
	s_cbranch_execz .LBB2_559
; %bb.535:
	v_add_u32_e32 v0, 12, v29
	v_add_u32_e32 v1, 0x404, v29
	;; [unrolled: 1-line block ×4, first 2 shown]
	ds_read2st64_b32 v[2:3], v0 offset1:4
	ds_read2st64_b32 v[4:5], v0 offset0:8 offset1:12
	ds_read2_b32 v[10:11], v29 offset0:1 offset1:2
	ds_read2_b32 v[12:13], v1 offset1:1
	ds_read2_b32 v[14:15], v6 offset1:1
	;; [unrolled: 1-line block ×3, first 2 shown]
	v_add_u32_e32 v1, 0x1004, v29
	ds_read2st64_b32 v[6:7], v0 offset0:16 offset1:20
	v_add_u32_e32 v20, 0x1404, v29
	v_add_u32_e32 v22, 0x1804, v29
	ds_read2st64_b32 v[8:9], v0 offset0:24 offset1:28
	v_add_u32_e32 v0, 0x1c04, v29
	ds_read2_b32 v[18:19], v1 offset1:1
	ds_read2_b32 v[20:21], v20 offset1:1
	;; [unrolled: 1-line block ×4, first 2 shown]
	v_and_b32_e32 v0, 0xfc, v27
	v_lshl_add_u32 v27, s8, 4, v0
	v_mul_lo_u32 v30, v27, s17
	v_ashrrev_i32_e32 v31, 31, v30
	s_lshl_b32 s0, s7, 4
	v_lshlrev_b64 v[30:31], 1, v[30:31]
	v_and_or_b32 v0, v26, 15, s0
	v_mov_b32_e32 v1, s15
	v_add_co_u32_e32 v26, vcc, s14, v30
	v_addc_co_u32_e32 v28, vcc, v1, v31, vcc
	v_ashrrev_i32_e32 v1, 31, v0
	v_lshlrev_b64 v[0:1], 1, v[0:1]
	v_add_co_u32_e32 v0, vcc, v26, v0
	v_addc_co_u32_e32 v1, vcc, v28, v1, vcc
	v_cmp_gt_i32_e32 vcc, s16, v27
	s_and_saveexec_b64 s[0:1], vcc
	s_cbranch_execz .LBB2_541
; %bb.536:
	ds_read2st64_b32 v[30:31], v29 offset1:4
	ds_read2st64_b32 v[32:33], v29 offset0:8 offset1:12
	ds_read2st64_b32 v[34:35], v29 offset0:16 offset1:20
	;; [unrolled: 1-line block ×3, first 2 shown]
	s_mov_b32 s2, 0x7f800000
	s_waitcnt lgkmcnt(3)
	v_add_f32_e32 v26, 0, v30
	v_add_f32_e32 v26, v26, v31
	s_waitcnt lgkmcnt(2)
	v_add_f32_e32 v26, v26, v32
	v_add_f32_e32 v26, v26, v33
	;; [unrolled: 3-line block ×4, first 2 shown]
	v_and_b32_e32 v28, 0x7f800000, v26
	v_cmp_ne_u32_e32 vcc, s2, v28
                                        ; implicit-def: $vgpr28
	s_and_saveexec_b64 s[2:3], vcc
	s_xor_b64 s[2:3], exec, s[2:3]
; %bb.537:
	v_bfe_u32 v28, v26, 16, 1
	s_movk_i32 s4, 0x7fff
	v_add3_u32 v28, v26, v28, s4
                                        ; implicit-def: $vgpr26
; %bb.538:
	s_andn2_saveexec_b64 s[2:3], s[2:3]
; %bb.539:
	v_mov_b32_e32 v28, 0
	v_or_b32_e32 v29, 0x10000, v26
	v_cmp_eq_u32_sdwa vcc, v26, v28 src0_sel:WORD_0 src1_sel:DWORD
	v_cndmask_b32_e32 v28, v29, v26, vcc
; %bb.540:
	s_or_b64 exec, exec, s[2:3]
	global_store_short_d16_hi v[0:1], v28, off
.LBB2_541:
	s_or_b64 exec, exec, s[0:1]
	v_or_b32_e32 v26, 1, v27
	v_cmp_gt_i32_e32 vcc, s16, v26
	s_and_saveexec_b64 s[0:1], vcc
	s_cbranch_execz .LBB2_547
; %bb.542:
	s_waitcnt lgkmcnt(9)
	v_add_f32_e32 v10, 0, v10
	s_waitcnt lgkmcnt(8)
	v_add_f32_e32 v10, v10, v12
	;; [unrolled: 2-line block ×8, first 2 shown]
	s_mov_b32 s2, 0x7f800000
	v_and_b32_e32 v10, 0x7f800000, v12
	v_cmp_ne_u32_e32 vcc, s2, v10
                                        ; implicit-def: $vgpr10
	s_and_saveexec_b64 s[2:3], vcc
	s_xor_b64 s[2:3], exec, s[2:3]
; %bb.543:
	v_bfe_u32 v10, v12, 16, 1
	s_movk_i32 s4, 0x7fff
	v_add3_u32 v10, v12, v10, s4
                                        ; implicit-def: $vgpr12
; %bb.544:
	s_andn2_saveexec_b64 s[2:3], s[2:3]
; %bb.545:
	v_mov_b32_e32 v10, 0
	v_or_b32_e32 v14, 0x10000, v12
	v_cmp_eq_u32_sdwa vcc, v12, v10 src0_sel:WORD_0 src1_sel:DWORD
	v_cndmask_b32_e32 v10, v14, v12, vcc
; %bb.546:
	s_or_b64 exec, exec, s[2:3]
	s_ashr_i32 s3, s17, 31
	s_mov_b32 s2, s17
	s_lshl_b64 s[2:3], s[2:3], 1
	v_mov_b32_e32 v12, s3
	v_add_co_u32_e32 v28, vcc, s2, v0
	v_addc_co_u32_e32 v29, vcc, v1, v12, vcc
	global_store_short_d16_hi v[28:29], v10, off
.LBB2_547:
	s_or_b64 exec, exec, s[0:1]
	s_waitcnt lgkmcnt(9)
	v_or_b32_e32 v10, 2, v27
	v_cmp_gt_i32_e32 vcc, s16, v10
	s_and_saveexec_b64 s[0:1], vcc
	s_cbranch_execz .LBB2_553
; %bb.548:
	v_add_f32_e32 v10, 0, v11
	s_waitcnt lgkmcnt(8)
	v_add_f32_e32 v10, v10, v13
	s_waitcnt lgkmcnt(7)
	;; [unrolled: 2-line block ×7, first 2 shown]
	v_add_f32_e32 v11, v10, v25
	s_mov_b32 s2, 0x7f800000
	v_and_b32_e32 v10, 0x7f800000, v11
	v_cmp_ne_u32_e32 vcc, s2, v10
                                        ; implicit-def: $vgpr10
	s_and_saveexec_b64 s[2:3], vcc
	s_xor_b64 s[2:3], exec, s[2:3]
; %bb.549:
	v_bfe_u32 v10, v11, 16, 1
	s_movk_i32 s4, 0x7fff
	v_add3_u32 v10, v11, v10, s4
                                        ; implicit-def: $vgpr11
; %bb.550:
	s_andn2_saveexec_b64 s[2:3], s[2:3]
; %bb.551:
	v_mov_b32_e32 v10, 0
	v_or_b32_e32 v12, 0x10000, v11
	v_cmp_eq_u32_sdwa vcc, v11, v10 src0_sel:WORD_0 src1_sel:DWORD
	v_cndmask_b32_e32 v10, v12, v11, vcc
; %bb.552:
	s_or_b64 exec, exec, s[2:3]
	s_lshl_b32 s2, s17, 1
	s_ashr_i32 s3, s2, 31
	s_lshl_b64 s[2:3], s[2:3], 1
	v_mov_b32_e32 v11, s3
	v_add_co_u32_e32 v12, vcc, s2, v0
	v_addc_co_u32_e32 v13, vcc, v1, v11, vcc
	global_store_short_d16_hi v[12:13], v10, off
.LBB2_553:
	s_or_b64 exec, exec, s[0:1]
	v_or_b32_e32 v10, 3, v27
	v_cmp_gt_i32_e32 vcc, s16, v10
	s_and_b64 exec, exec, vcc
	s_cbranch_execz .LBB2_559
; %bb.554:
	v_add_f32_e32 v2, 0, v2
	v_add_f32_e32 v2, v2, v3
	;; [unrolled: 1-line block ×4, first 2 shown]
	s_waitcnt lgkmcnt(5)
	v_add_f32_e32 v2, v2, v6
	v_add_f32_e32 v2, v2, v7
	s_waitcnt lgkmcnt(4)
	v_add_f32_e32 v2, v2, v8
	v_add_f32_e32 v3, v2, v9
	s_mov_b32 s0, 0x7f800000
	v_and_b32_e32 v2, 0x7f800000, v3
	v_cmp_ne_u32_e32 vcc, s0, v2
                                        ; implicit-def: $vgpr2
	s_and_saveexec_b64 s[0:1], vcc
	s_xor_b64 s[0:1], exec, s[0:1]
; %bb.555:
	v_bfe_u32 v2, v3, 16, 1
	s_movk_i32 s2, 0x7fff
	v_add3_u32 v2, v3, v2, s2
                                        ; implicit-def: $vgpr3
; %bb.556:
	s_andn2_saveexec_b64 s[0:1], s[0:1]
; %bb.557:
	v_mov_b32_e32 v2, 0
	v_or_b32_e32 v4, 0x10000, v3
	v_cmp_eq_u32_sdwa vcc, v3, v2 src0_sel:WORD_0 src1_sel:DWORD
	v_cndmask_b32_e32 v2, v4, v3, vcc
; %bb.558:
	s_or_b64 exec, exec, s[0:1]
	s_mul_i32 s0, s17, 3
	s_ashr_i32 s1, s0, 31
	s_lshl_b64 s[0:1], s[0:1], 1
	v_mov_b32_e32 v3, s1
	v_add_co_u32_e32 v0, vcc, s0, v0
	v_addc_co_u32_e32 v1, vcc, v1, v3, vcc
	global_store_short_d16_hi v[0:1], v2, off
.LBB2_559:
	s_endpgm
	.section	.rodata,"a",@progbits
	.p2align	6, 0x0
	.amdhsa_kernel _ZN2at6native30tinygemm_m16n8k16_chunk_kernelINS0_10ALayout_RMILNS0_14KReductionTypeE0EEENS0_15BLayout_TC_int4ILi8ELi32EEES4_Li8ELi8EEEvPKvS8_S8_Pviiiiii
		.amdhsa_group_segment_fixed_size 8192
		.amdhsa_private_segment_fixed_size 0
		.amdhsa_kernarg_size 56
		.amdhsa_user_sgpr_count 6
		.amdhsa_user_sgpr_private_segment_buffer 1
		.amdhsa_user_sgpr_dispatch_ptr 0
		.amdhsa_user_sgpr_queue_ptr 0
		.amdhsa_user_sgpr_kernarg_segment_ptr 1
		.amdhsa_user_sgpr_dispatch_id 0
		.amdhsa_user_sgpr_flat_scratch_init 0
		.amdhsa_user_sgpr_kernarg_preload_length 0
		.amdhsa_user_sgpr_kernarg_preload_offset 0
		.amdhsa_user_sgpr_private_segment_size 0
		.amdhsa_uses_dynamic_stack 0
		.amdhsa_system_sgpr_private_segment_wavefront_offset 0
		.amdhsa_system_sgpr_workgroup_id_x 1
		.amdhsa_system_sgpr_workgroup_id_y 1
		.amdhsa_system_sgpr_workgroup_id_z 1
		.amdhsa_system_sgpr_workgroup_info 0
		.amdhsa_system_vgpr_workitem_id 1
		.amdhsa_next_free_vgpr 72
		.amdhsa_next_free_sgpr 37
		.amdhsa_accum_offset 72
		.amdhsa_reserve_vcc 1
		.amdhsa_reserve_flat_scratch 0
		.amdhsa_float_round_mode_32 0
		.amdhsa_float_round_mode_16_64 0
		.amdhsa_float_denorm_mode_32 3
		.amdhsa_float_denorm_mode_16_64 3
		.amdhsa_dx10_clamp 1
		.amdhsa_ieee_mode 1
		.amdhsa_fp16_overflow 0
		.amdhsa_tg_split 0
		.amdhsa_exception_fp_ieee_invalid_op 0
		.amdhsa_exception_fp_denorm_src 0
		.amdhsa_exception_fp_ieee_div_zero 0
		.amdhsa_exception_fp_ieee_overflow 0
		.amdhsa_exception_fp_ieee_underflow 0
		.amdhsa_exception_fp_ieee_inexact 0
		.amdhsa_exception_int_div_zero 0
	.end_amdhsa_kernel
	.section	.text._ZN2at6native30tinygemm_m16n8k16_chunk_kernelINS0_10ALayout_RMILNS0_14KReductionTypeE0EEENS0_15BLayout_TC_int4ILi8ELi32EEES4_Li8ELi8EEEvPKvS8_S8_Pviiiiii,"axG",@progbits,_ZN2at6native30tinygemm_m16n8k16_chunk_kernelINS0_10ALayout_RMILNS0_14KReductionTypeE0EEENS0_15BLayout_TC_int4ILi8ELi32EEES4_Li8ELi8EEEvPKvS8_S8_Pviiiiii,comdat
.Lfunc_end2:
	.size	_ZN2at6native30tinygemm_m16n8k16_chunk_kernelINS0_10ALayout_RMILNS0_14KReductionTypeE0EEENS0_15BLayout_TC_int4ILi8ELi32EEES4_Li8ELi8EEEvPKvS8_S8_Pviiiiii, .Lfunc_end2-_ZN2at6native30tinygemm_m16n8k16_chunk_kernelINS0_10ALayout_RMILNS0_14KReductionTypeE0EEENS0_15BLayout_TC_int4ILi8ELi32EEES4_Li8ELi8EEEvPKvS8_S8_Pviiiiii
                                        ; -- End function
	.section	.AMDGPU.csdata,"",@progbits
; Kernel info:
; codeLenInByte = 15160
; NumSgprs: 41
; NumVgprs: 72
; NumAgprs: 0
; TotalNumVgprs: 72
; ScratchSize: 0
; MemoryBound: 0
; FloatMode: 240
; IeeeMode: 1
; LDSByteSize: 8192 bytes/workgroup (compile time only)
; SGPRBlocks: 5
; VGPRBlocks: 8
; NumSGPRsForWavesPerEU: 41
; NumVGPRsForWavesPerEU: 72
; AccumOffset: 72
; Occupancy: 7
; WaveLimiterHint : 0
; COMPUTE_PGM_RSRC2:SCRATCH_EN: 0
; COMPUTE_PGM_RSRC2:USER_SGPR: 6
; COMPUTE_PGM_RSRC2:TRAP_HANDLER: 0
; COMPUTE_PGM_RSRC2:TGID_X_EN: 1
; COMPUTE_PGM_RSRC2:TGID_Y_EN: 1
; COMPUTE_PGM_RSRC2:TGID_Z_EN: 1
; COMPUTE_PGM_RSRC2:TIDIG_COMP_CNT: 1
; COMPUTE_PGM_RSRC3_GFX90A:ACCUM_OFFSET: 17
; COMPUTE_PGM_RSRC3_GFX90A:TG_SPLIT: 0
	.section	.text._ZN2at6native30tinygemm_m16n8k16_chunk_kernelINS0_10ALayout_RMILNS0_14KReductionTypeE0EEENS0_15BLayout_TC_int4ILi2ELi64EEES4_Li8ELi8EEEvPKvS8_S8_Pviiiiii,"axG",@progbits,_ZN2at6native30tinygemm_m16n8k16_chunk_kernelINS0_10ALayout_RMILNS0_14KReductionTypeE0EEENS0_15BLayout_TC_int4ILi2ELi64EEES4_Li8ELi8EEEvPKvS8_S8_Pviiiiii,comdat
	.protected	_ZN2at6native30tinygemm_m16n8k16_chunk_kernelINS0_10ALayout_RMILNS0_14KReductionTypeE0EEENS0_15BLayout_TC_int4ILi2ELi64EEES4_Li8ELi8EEEvPKvS8_S8_Pviiiiii ; -- Begin function _ZN2at6native30tinygemm_m16n8k16_chunk_kernelINS0_10ALayout_RMILNS0_14KReductionTypeE0EEENS0_15BLayout_TC_int4ILi2ELi64EEES4_Li8ELi8EEEvPKvS8_S8_Pviiiiii
	.globl	_ZN2at6native30tinygemm_m16n8k16_chunk_kernelINS0_10ALayout_RMILNS0_14KReductionTypeE0EEENS0_15BLayout_TC_int4ILi2ELi64EEES4_Li8ELi8EEEvPKvS8_S8_Pviiiiii
	.p2align	8
	.type	_ZN2at6native30tinygemm_m16n8k16_chunk_kernelINS0_10ALayout_RMILNS0_14KReductionTypeE0EEENS0_15BLayout_TC_int4ILi2ELi64EEES4_Li8ELi8EEEvPKvS8_S8_Pviiiiii,@function
_ZN2at6native30tinygemm_m16n8k16_chunk_kernelINS0_10ALayout_RMILNS0_14KReductionTypeE0EEENS0_15BLayout_TC_int4ILi2ELi64EEES4_Li8ELi8EEEvPKvS8_S8_Pviiiiii: ; @_ZN2at6native30tinygemm_m16n8k16_chunk_kernelINS0_10ALayout_RMILNS0_14KReductionTypeE0EEENS0_15BLayout_TC_int4ILi2ELi64EEES4_Li8ELi8EEEvPKvS8_S8_Pviiiiii
; %bb.0:
	s_load_dwordx2 s[2:3], s[4:5], 0x30
	s_load_dwordx4 s[20:23], s[4:5], 0x0
	s_load_dwordx8 s[12:19], s[4:5], 0x10
	v_bfe_u32 v24, v0, 10, 10
	s_mov_b32 s24, 0
	s_waitcnt lgkmcnt(0)
	s_ashr_i32 s0, s3, 31
	s_lshr_b32 s0, s0, 29
	v_and_b32_e32 v26, 0x3ff, v0
	s_add_i32 s0, s3, s0
	v_lshlrev_b32_e32 v0, 3, v24
	s_mov_b32 s25, s24
	s_and_b32 s9, s0, -8
	v_lshl_add_u32 v28, s6, 6, v0
	s_mov_b32 s26, s24
	s_mov_b32 s27, s24
	v_pk_mov_b32 v[0:1], s[24:25], s[24:25] op_sel:[0,1]
	v_cmp_gt_i32_e32 vcc, s9, v28
	v_pk_mov_b32 v[2:3], s[26:27], s[26:27] op_sel:[0,1]
	v_and_b32_e32 v25, 15, v26
	v_lshrrev_b32_e32 v27, 2, v26
	s_and_saveexec_b64 s[4:5], vcc
	s_cbranch_execz .LBB3_268
; %bb.1:
	v_lshl_or_b32 v2, s8, 4, v25
	v_mul_lo_u32 v0, v2, s18
	v_ashrrev_i32_e32 v1, 31, v0
	s_lshr_b32 s0, s3, 31
	v_lshlrev_b64 v[0:1], 1, v[0:1]
	s_add_i32 s0, s3, s0
	v_mov_b32_e32 v4, s21
	v_add_co_u32_e32 v29, vcc, s20, v0
	s_ashr_i32 s19, s0, 1
	s_lshl_b32 s0, s2, 5
	v_and_b32_e32 v3, 0xfc, v27
	v_addc_co_u32_e32 v30, vcc, v4, v1, vcc
	s_ashr_i32 s1, s0, 31
	s_lshl_b32 s6, s6, 10
	v_lshlrev_b32_e32 v0, 7, v24
	v_mov_b32_e32 v32, 0
	v_cmp_gt_i32_e32 vcc, s16, v2
	s_mul_i32 s19, s19, s7
	v_lshl_or_b32 v31, s7, 4, v25
	s_lshl_b32 s28, s2, 4
	v_add3_u32 v4, s6, v0, v3
	s_mov_b64 s[10:11], 0
	s_lshl_b64 s[24:25], s[0:1], 1
	v_mov_b32_e32 v33, 0xf000f
	v_mov_b32_e32 v34, 0x43004300
	s_mov_b32 s6, 0x7f800000
	s_movk_i32 s29, 0x7fff
	s_mov_b32 s30, 0x3020706
	v_mov_b32_e32 v0, 0
	v_mov_b32_e32 v1, v32
	;; [unrolled: 1-line block ×4, first 2 shown]
	s_branch .LBB3_3
.LBB3_2:                                ;   in Loop: Header=BB3_3 Depth=1
	s_or_b64 exec, exec, s[26:27]
	v_perm_b32 v23, v23, v35, s30
	v_perm_b32 v22, v5, v22, s30
	;; [unrolled: 1-line block ×3, first 2 shown]
	v_add_u32_e32 v28, 64, v28
	v_mfma_f32_16x16x16bf16_1k v[66:69], v[8:9], v[22:23], 0
	v_perm_b32 v9, v38, v39, s30
	v_perm_b32 v8, v36, v37, s30
	;; [unrolled: 1-line block ×5, first 2 shown]
	v_cmp_le_i32_e64 s[0:1], s9, v28
	s_or_b64 s[10:11], s[0:1], s[10:11]
	v_mfma_f32_16x16x16bf16_1k v[6:9], v[6:7], v[8:9], 0
	s_nop 2
	v_pk_add_f32 v[2:3], v[2:3], v[68:69]
	v_pk_add_f32 v[0:1], v[0:1], v[66:67]
	v_add_u32_e32 v4, 0x400, v4
	v_mfma_f32_16x16x16bf16_1k v[36:39], v[16:17], v[22:23], 0
	v_perm_b32 v17, v48, v49, s30
	v_perm_b32 v16, v46, v47, s30
	;; [unrolled: 1-line block ×4, first 2 shown]
	v_pk_add_f32 v[2:3], v[2:3], v[8:9]
	v_pk_add_f32 v[0:1], v[0:1], v[6:7]
	v_perm_b32 v47, v64, v53, s30
	v_mfma_f32_16x16x16bf16_1k v[14:17], v[14:15], v[16:17], 0
	s_nop 2
	v_pk_add_f32 v[2:3], v[2:3], v[38:39]
	v_pk_add_f32 v[6:7], v[0:1], v[36:37]
	v_perm_b32 v46, v62, v63, s30
	v_mfma_f32_16x16x16bf16_1k v[42:45], v[10:11], v[22:23], 0
	v_perm_b32 v11, v57, v58, s30
	v_perm_b32 v10, v55, v56, s30
	s_nop 1
	v_pk_add_f32 v[8:9], v[2:3], v[16:17]
	v_pk_add_f32 v[6:7], v[6:7], v[14:15]
	v_mfma_f32_16x16x16bf16_1k v[20:23], v[20:21], v[10:11], 0
	s_nop 3
	v_pk_add_f32 v[8:9], v[8:9], v[44:45]
	v_pk_add_f32 v[6:7], v[6:7], v[42:43]
	v_mfma_f32_16x16x16bf16_1k v[0:3], v[18:19], v[40:41], 0
	s_nop 3
	v_pk_add_f32 v[8:9], v[8:9], v[22:23]
	v_pk_add_f32 v[6:7], v[6:7], v[20:21]
	s_nop 4
	v_pk_add_f32 v[8:9], v[8:9], v[2:3]
	v_pk_add_f32 v[6:7], v[6:7], v[0:1]
	v_mfma_f32_16x16x16bf16_1k v[0:3], v[12:13], v[46:47], 0
	s_nop 7
	s_nop 2
	v_pk_add_f32 v[2:3], v[8:9], v[2:3]
	v_pk_add_f32 v[0:1], v[6:7], v[0:1]
	s_andn2_b64 exec, exec, s[10:11]
	s_cbranch_execz .LBB3_267
.LBB3_3:                                ; =>This Inner Loop Header: Depth=1
	v_ashrrev_i32_e32 v5, 31, v4
	v_lshlrev_b64 v[6:7], 1, v[4:5]
	v_add_co_u32_e64 v22, s[0:1], v29, v6
	v_addc_co_u32_e64 v23, s[0:1], v30, v7, s[0:1]
	v_mov_b32_e32 v8, 0
	v_mov_b32_e32 v9, 0
	;; [unrolled: 1-line block ×4, first 2 shown]
	s_and_saveexec_b64 s[0:1], vcc
	s_cbranch_execz .LBB3_5
; %bb.4:                                ;   in Loop: Header=BB3_3 Depth=1
	global_load_dwordx2 v[8:9], v[22:23], off
	global_load_dwordx2 v[6:7], v[22:23], off offset:32
.LBB3_5:                                ;   in Loop: Header=BB3_3 Depth=1
	s_or_b64 exec, exec, s[0:1]
	v_mov_b32_e32 v10, 0
	v_mov_b32_e32 v16, 0
	;; [unrolled: 1-line block ×5, first 2 shown]
	s_and_saveexec_b64 s[0:1], vcc
	s_cbranch_execz .LBB3_7
; %bb.6:                                ;   in Loop: Header=BB3_3 Depth=1
	global_load_dwordx2 v[16:17], v[22:23], off offset:64
	global_load_dwordx2 v[14:15], v[22:23], off offset:96
.LBB3_7:                                ;   in Loop: Header=BB3_3 Depth=1
	s_or_b64 exec, exec, s[0:1]
	v_mov_b32_e32 v11, 0
	v_mov_b32_e32 v20, 0
	;; [unrolled: 1-line block ×3, first 2 shown]
	s_and_saveexec_b64 s[0:1], vcc
	s_cbranch_execz .LBB3_9
; %bb.8:                                ;   in Loop: Header=BB3_3 Depth=1
	global_load_dwordx2 v[10:11], v[22:23], off offset:128
	global_load_dwordx2 v[20:21], v[22:23], off offset:160
.LBB3_9:                                ;   in Loop: Header=BB3_3 Depth=1
	s_or_b64 exec, exec, s[0:1]
	v_mov_b32_e32 v18, 0
	v_mov_b32_e32 v19, 0
	;; [unrolled: 1-line block ×4, first 2 shown]
	s_and_saveexec_b64 s[0:1], vcc
	s_cbranch_execz .LBB3_11
; %bb.10:                               ;   in Loop: Header=BB3_3 Depth=1
	global_load_dwordx2 v[18:19], v[22:23], off offset:192
	global_load_dwordx2 v[12:13], v[22:23], off offset:224
.LBB3_11:                               ;   in Loop: Header=BB3_3 Depth=1
	s_or_b64 exec, exec, s[0:1]
	v_lshrrev_b32_e32 v5, 1, v28
	v_add_u32_e32 v5, s19, v5
	v_lshl_add_u32 v22, v5, 6, v26
	v_ashrrev_i32_e32 v23, 31, v22
	v_lshlrev_b64 v[22:23], 2, v[22:23]
	v_mov_b32_e32 v5, s23
	v_add_co_u32_e64 v22, s[0:1], s22, v22
	v_addc_co_u32_e64 v23, s[0:1], v5, v23, s[0:1]
	v_ashrrev_i32_e32 v5, 2, v28
	v_mul_lo_u32 v5, s28, v5
	global_load_dword v35, v[22:23], off
	global_load_dword v41, v[22:23], off offset:256
	global_load_dword v50, v[22:23], off offset:512
	;; [unrolled: 1-line block ×3, first 2 shown]
	v_add_lshl_u32 v22, v31, v5, 1
	v_ashrrev_i32_e32 v23, 31, v22
	v_lshlrev_b64 v[22:23], 1, v[22:23]
	v_mov_b32_e32 v5, s13
	v_add_co_u32_e64 v22, s[0:1], s12, v22
	v_addc_co_u32_e64 v23, s[0:1], v5, v23, s[0:1]
	v_mov_b32_e32 v5, s25
	v_add_co_u32_e64 v36, s[0:1], s24, v22
	v_addc_co_u32_e64 v37, s[0:1], v23, v5, s[0:1]
	global_load_dword v5, v[22:23], off
	global_load_dword v42, v[36:37], off
                                        ; implicit-def: $vgpr43
	s_waitcnt vmcnt(5)
	;;#ASMSTART
	v_and_or_b32 v22, v35, v33, v34
	;;#ASMEND
	v_lshrrev_b32_e32 v23, 4, v35
	v_lshrrev_b32_e32 v36, 8, v35
	;; [unrolled: 1-line block ×3, first 2 shown]
	;;#ASMSTART
	v_and_or_b32 v35, v23, v33, v34
	;;#ASMEND
	v_lshlrev_b32_e32 v23, 16, v22
	v_add_f32_e32 v23, 0xc3080000, v23
	;;#ASMSTART
	v_and_or_b32 v37, v36, v33, v34
	;;#ASMEND
	v_and_b32_e32 v36, 0x7f800000, v23
	v_cmp_ne_u32_e64 s[0:1], s6, v36
	;;#ASMSTART
	v_and_or_b32 v39, v38, v33, v34
	;;#ASMEND
	s_and_saveexec_b64 s[26:27], s[0:1]
	s_xor_b64 s[0:1], exec, s[26:27]
; %bb.12:                               ;   in Loop: Header=BB3_3 Depth=1
	v_bfe_u32 v36, v23, 16, 1
	v_add3_u32 v43, v23, v36, s29
                                        ; implicit-def: $vgpr23
; %bb.13:                               ;   in Loop: Header=BB3_3 Depth=1
	s_andn2_saveexec_b64 s[26:27], s[0:1]
; %bb.14:                               ;   in Loop: Header=BB3_3 Depth=1
	v_or_b32_e32 v36, 0x10000, v23
	v_cmp_eq_u32_sdwa s[0:1], v23, v32 src0_sel:WORD_0 src1_sel:DWORD
	v_cndmask_b32_e64 v43, v36, v23, s[0:1]
; %bb.15:                               ;   in Loop: Header=BB3_3 Depth=1
	s_or_b64 exec, exec, s[26:27]
	v_and_b32_e32 v22, 0xffff0000, v22
	v_add_f32_e32 v23, 0xc3080000, v22
	v_and_b32_e32 v22, 0x7f800000, v23
	v_cmp_ne_u32_e64 s[0:1], s6, v22
                                        ; implicit-def: $vgpr22
	s_and_saveexec_b64 s[26:27], s[0:1]
	s_xor_b64 s[0:1], exec, s[26:27]
; %bb.16:                               ;   in Loop: Header=BB3_3 Depth=1
	v_bfe_u32 v22, v23, 16, 1
	v_add3_u32 v22, v23, v22, s29
                                        ; implicit-def: $vgpr23
; %bb.17:                               ;   in Loop: Header=BB3_3 Depth=1
	s_andn2_saveexec_b64 s[26:27], s[0:1]
; %bb.18:                               ;   in Loop: Header=BB3_3 Depth=1
	v_or_b32_e32 v22, 0x10000, v23
	v_cmp_eq_u32_sdwa s[0:1], v23, v32 src0_sel:WORD_0 src1_sel:DWORD
	v_cndmask_b32_e64 v22, v22, v23, s[0:1]
; %bb.19:                               ;   in Loop: Header=BB3_3 Depth=1
	s_or_b64 exec, exec, s[26:27]
	v_lshlrev_b32_e32 v23, 16, v35
	v_add_f32_e32 v36, 0xc3080000, v23
	v_and_b32_e32 v23, 0x7f800000, v36
	v_cmp_ne_u32_e64 s[0:1], s6, v23
                                        ; implicit-def: $vgpr23
	s_and_saveexec_b64 s[26:27], s[0:1]
	s_xor_b64 s[0:1], exec, s[26:27]
; %bb.20:                               ;   in Loop: Header=BB3_3 Depth=1
	v_bfe_u32 v23, v36, 16, 1
	v_add3_u32 v23, v36, v23, s29
                                        ; implicit-def: $vgpr36
; %bb.21:                               ;   in Loop: Header=BB3_3 Depth=1
	s_andn2_saveexec_b64 s[26:27], s[0:1]
; %bb.22:                               ;   in Loop: Header=BB3_3 Depth=1
	v_or_b32_e32 v23, 0x10000, v36
	v_cmp_eq_u32_sdwa s[0:1], v36, v32 src0_sel:WORD_0 src1_sel:DWORD
	v_cndmask_b32_e64 v23, v23, v36, s[0:1]
; %bb.23:                               ;   in Loop: Header=BB3_3 Depth=1
	s_or_b64 exec, exec, s[26:27]
	v_and_b32_e32 v35, 0xffff0000, v35
	v_add_f32_e32 v36, 0xc3080000, v35
	v_and_b32_e32 v35, 0x7f800000, v36
	v_cmp_ne_u32_e64 s[0:1], s6, v35
                                        ; implicit-def: $vgpr35
	s_and_saveexec_b64 s[26:27], s[0:1]
	s_xor_b64 s[0:1], exec, s[26:27]
; %bb.24:                               ;   in Loop: Header=BB3_3 Depth=1
	v_bfe_u32 v35, v36, 16, 1
	v_add3_u32 v35, v36, v35, s29
                                        ; implicit-def: $vgpr36
; %bb.25:                               ;   in Loop: Header=BB3_3 Depth=1
	s_andn2_saveexec_b64 s[26:27], s[0:1]
; %bb.26:                               ;   in Loop: Header=BB3_3 Depth=1
	v_or_b32_e32 v35, 0x10000, v36
	v_cmp_eq_u32_sdwa s[0:1], v36, v32 src0_sel:WORD_0 src1_sel:DWORD
	v_cndmask_b32_e64 v35, v35, v36, s[0:1]
; %bb.27:                               ;   in Loop: Header=BB3_3 Depth=1
	s_or_b64 exec, exec, s[26:27]
	v_lshlrev_b32_e32 v36, 16, v37
	v_add_f32_e32 v38, 0xc3080000, v36
	v_and_b32_e32 v36, 0x7f800000, v38
	v_cmp_ne_u32_e64 s[0:1], s6, v36
                                        ; implicit-def: $vgpr36
	s_and_saveexec_b64 s[26:27], s[0:1]
	s_xor_b64 s[0:1], exec, s[26:27]
; %bb.28:                               ;   in Loop: Header=BB3_3 Depth=1
	v_bfe_u32 v36, v38, 16, 1
	v_add3_u32 v36, v38, v36, s29
                                        ; implicit-def: $vgpr38
; %bb.29:                               ;   in Loop: Header=BB3_3 Depth=1
	s_andn2_saveexec_b64 s[26:27], s[0:1]
; %bb.30:                               ;   in Loop: Header=BB3_3 Depth=1
	v_or_b32_e32 v36, 0x10000, v38
	v_cmp_eq_u32_sdwa s[0:1], v38, v32 src0_sel:WORD_0 src1_sel:DWORD
	v_cndmask_b32_e64 v36, v36, v38, s[0:1]
; %bb.31:                               ;   in Loop: Header=BB3_3 Depth=1
	s_or_b64 exec, exec, s[26:27]
	v_and_b32_e32 v37, 0xffff0000, v37
	v_add_f32_e32 v38, 0xc3080000, v37
	v_and_b32_e32 v37, 0x7f800000, v38
	v_cmp_ne_u32_e64 s[0:1], s6, v37
                                        ; implicit-def: $vgpr37
	s_and_saveexec_b64 s[26:27], s[0:1]
	s_xor_b64 s[0:1], exec, s[26:27]
; %bb.32:                               ;   in Loop: Header=BB3_3 Depth=1
	v_bfe_u32 v37, v38, 16, 1
	v_add3_u32 v37, v38, v37, s29
                                        ; implicit-def: $vgpr38
; %bb.33:                               ;   in Loop: Header=BB3_3 Depth=1
	s_andn2_saveexec_b64 s[26:27], s[0:1]
; %bb.34:                               ;   in Loop: Header=BB3_3 Depth=1
	v_or_b32_e32 v37, 0x10000, v38
	v_cmp_eq_u32_sdwa s[0:1], v38, v32 src0_sel:WORD_0 src1_sel:DWORD
	v_cndmask_b32_e64 v37, v37, v38, s[0:1]
; %bb.35:                               ;   in Loop: Header=BB3_3 Depth=1
	s_or_b64 exec, exec, s[26:27]
	v_lshlrev_b32_e32 v38, 16, v39
	v_add_f32_e32 v44, 0xc3080000, v38
	v_and_b32_e32 v38, 0x7f800000, v44
	v_cmp_ne_u32_e64 s[0:1], s6, v38
                                        ; implicit-def: $vgpr38
	s_and_saveexec_b64 s[26:27], s[0:1]
	s_xor_b64 s[0:1], exec, s[26:27]
; %bb.36:                               ;   in Loop: Header=BB3_3 Depth=1
	v_bfe_u32 v38, v44, 16, 1
	v_add3_u32 v38, v44, v38, s29
                                        ; implicit-def: $vgpr44
; %bb.37:                               ;   in Loop: Header=BB3_3 Depth=1
	s_andn2_saveexec_b64 s[26:27], s[0:1]
; %bb.38:                               ;   in Loop: Header=BB3_3 Depth=1
	v_or_b32_e32 v38, 0x10000, v44
	v_cmp_eq_u32_sdwa s[0:1], v44, v32 src0_sel:WORD_0 src1_sel:DWORD
	v_cndmask_b32_e64 v38, v38, v44, s[0:1]
; %bb.39:                               ;   in Loop: Header=BB3_3 Depth=1
	s_or_b64 exec, exec, s[26:27]
	v_and_b32_e32 v39, 0xffff0000, v39
	v_add_f32_e32 v44, 0xc3080000, v39
	v_and_b32_e32 v39, 0x7f800000, v44
	v_cmp_ne_u32_e64 s[0:1], s6, v39
                                        ; implicit-def: $vgpr39
	s_and_saveexec_b64 s[26:27], s[0:1]
	s_xor_b64 s[0:1], exec, s[26:27]
; %bb.40:                               ;   in Loop: Header=BB3_3 Depth=1
	v_bfe_u32 v39, v44, 16, 1
	v_add3_u32 v39, v44, v39, s29
                                        ; implicit-def: $vgpr44
; %bb.41:                               ;   in Loop: Header=BB3_3 Depth=1
	s_andn2_saveexec_b64 s[26:27], s[0:1]
; %bb.42:                               ;   in Loop: Header=BB3_3 Depth=1
	v_or_b32_e32 v39, 0x10000, v44
	v_cmp_eq_u32_sdwa s[0:1], v44, v32 src0_sel:WORD_0 src1_sel:DWORD
	v_cndmask_b32_e64 v39, v39, v44, s[0:1]
; %bb.43:                               ;   in Loop: Header=BB3_3 Depth=1
	s_or_b64 exec, exec, s[26:27]
	v_and_b32_e32 v43, 0xffff0000, v43
	s_waitcnt vmcnt(1)
	v_lshlrev_b32_e32 v49, 16, v5
	v_and_b32_e32 v51, 0xffff0000, v5
	v_fma_f32 v43, v43, v49, v51
	v_and_b32_e32 v5, 0x7f800000, v43
	v_cmp_ne_u32_e64 s[0:1], s6, v5
                                        ; implicit-def: $vgpr5
	s_and_saveexec_b64 s[26:27], s[0:1]
	s_xor_b64 s[0:1], exec, s[26:27]
; %bb.44:                               ;   in Loop: Header=BB3_3 Depth=1
	v_bfe_u32 v5, v43, 16, 1
	v_add3_u32 v5, v43, v5, s29
                                        ; implicit-def: $vgpr43
; %bb.45:                               ;   in Loop: Header=BB3_3 Depth=1
	s_andn2_saveexec_b64 s[26:27], s[0:1]
; %bb.46:                               ;   in Loop: Header=BB3_3 Depth=1
	v_or_b32_e32 v5, 0x10000, v43
	v_cmp_eq_u32_sdwa s[0:1], v43, v32 src0_sel:WORD_0 src1_sel:DWORD
	v_cndmask_b32_e64 v5, v5, v43, s[0:1]
; %bb.47:                               ;   in Loop: Header=BB3_3 Depth=1
	s_or_b64 exec, exec, s[26:27]
	v_and_b32_e32 v22, 0xffff0000, v22
	v_fma_f32 v43, v22, v49, v51
	v_and_b32_e32 v22, 0x7f800000, v43
	v_cmp_ne_u32_e64 s[0:1], s6, v22
                                        ; implicit-def: $vgpr22
	s_and_saveexec_b64 s[26:27], s[0:1]
	s_xor_b64 s[0:1], exec, s[26:27]
; %bb.48:                               ;   in Loop: Header=BB3_3 Depth=1
	v_bfe_u32 v22, v43, 16, 1
	v_add3_u32 v22, v43, v22, s29
                                        ; implicit-def: $vgpr43
; %bb.49:                               ;   in Loop: Header=BB3_3 Depth=1
	s_andn2_saveexec_b64 s[26:27], s[0:1]
; %bb.50:                               ;   in Loop: Header=BB3_3 Depth=1
	v_or_b32_e32 v22, 0x10000, v43
	v_cmp_eq_u32_sdwa s[0:1], v43, v32 src0_sel:WORD_0 src1_sel:DWORD
	v_cndmask_b32_e64 v22, v22, v43, s[0:1]
; %bb.51:                               ;   in Loop: Header=BB3_3 Depth=1
	s_or_b64 exec, exec, s[26:27]
	v_and_b32_e32 v23, 0xffff0000, v23
	v_fma_f32 v43, v23, v49, v51
	v_and_b32_e32 v23, 0x7f800000, v43
	v_cmp_ne_u32_e64 s[0:1], s6, v23
                                        ; implicit-def: $vgpr23
	s_and_saveexec_b64 s[26:27], s[0:1]
	s_xor_b64 s[0:1], exec, s[26:27]
; %bb.52:                               ;   in Loop: Header=BB3_3 Depth=1
	v_bfe_u32 v23, v43, 16, 1
	v_add3_u32 v23, v43, v23, s29
                                        ; implicit-def: $vgpr43
; %bb.53:                               ;   in Loop: Header=BB3_3 Depth=1
	s_andn2_saveexec_b64 s[26:27], s[0:1]
; %bb.54:                               ;   in Loop: Header=BB3_3 Depth=1
	v_or_b32_e32 v23, 0x10000, v43
	v_cmp_eq_u32_sdwa s[0:1], v43, v32 src0_sel:WORD_0 src1_sel:DWORD
	v_cndmask_b32_e64 v23, v23, v43, s[0:1]
; %bb.55:                               ;   in Loop: Header=BB3_3 Depth=1
	s_or_b64 exec, exec, s[26:27]
	v_and_b32_e32 v35, 0xffff0000, v35
	v_fma_f32 v43, v35, v49, v51
	v_and_b32_e32 v35, 0x7f800000, v43
	v_cmp_ne_u32_e64 s[0:1], s6, v35
                                        ; implicit-def: $vgpr35
	s_and_saveexec_b64 s[26:27], s[0:1]
	s_xor_b64 s[0:1], exec, s[26:27]
; %bb.56:                               ;   in Loop: Header=BB3_3 Depth=1
	v_bfe_u32 v35, v43, 16, 1
	v_add3_u32 v35, v43, v35, s29
                                        ; implicit-def: $vgpr43
; %bb.57:                               ;   in Loop: Header=BB3_3 Depth=1
	s_andn2_saveexec_b64 s[26:27], s[0:1]
; %bb.58:                               ;   in Loop: Header=BB3_3 Depth=1
	v_or_b32_e32 v35, 0x10000, v43
	v_cmp_eq_u32_sdwa s[0:1], v43, v32 src0_sel:WORD_0 src1_sel:DWORD
	v_cndmask_b32_e64 v35, v35, v43, s[0:1]
; %bb.59:                               ;   in Loop: Header=BB3_3 Depth=1
	s_or_b64 exec, exec, s[26:27]
	v_and_b32_e32 v36, 0xffff0000, v36
	v_fma_f32 v43, v36, v49, v51
	v_and_b32_e32 v36, 0x7f800000, v43
	v_cmp_ne_u32_e64 s[0:1], s6, v36
                                        ; implicit-def: $vgpr36
	s_and_saveexec_b64 s[26:27], s[0:1]
	s_xor_b64 s[0:1], exec, s[26:27]
; %bb.60:                               ;   in Loop: Header=BB3_3 Depth=1
	v_bfe_u32 v36, v43, 16, 1
	v_add3_u32 v36, v43, v36, s29
                                        ; implicit-def: $vgpr43
; %bb.61:                               ;   in Loop: Header=BB3_3 Depth=1
	s_andn2_saveexec_b64 s[26:27], s[0:1]
; %bb.62:                               ;   in Loop: Header=BB3_3 Depth=1
	v_or_b32_e32 v36, 0x10000, v43
	v_cmp_eq_u32_sdwa s[0:1], v43, v32 src0_sel:WORD_0 src1_sel:DWORD
	v_cndmask_b32_e64 v36, v36, v43, s[0:1]
; %bb.63:                               ;   in Loop: Header=BB3_3 Depth=1
	s_or_b64 exec, exec, s[26:27]
	v_and_b32_e32 v37, 0xffff0000, v37
	v_fma_f32 v43, v37, v49, v51
	v_and_b32_e32 v37, 0x7f800000, v43
	v_cmp_ne_u32_e64 s[0:1], s6, v37
                                        ; implicit-def: $vgpr37
	s_and_saveexec_b64 s[26:27], s[0:1]
	s_xor_b64 s[0:1], exec, s[26:27]
; %bb.64:                               ;   in Loop: Header=BB3_3 Depth=1
	v_bfe_u32 v37, v43, 16, 1
	v_add3_u32 v37, v43, v37, s29
                                        ; implicit-def: $vgpr43
; %bb.65:                               ;   in Loop: Header=BB3_3 Depth=1
	s_andn2_saveexec_b64 s[26:27], s[0:1]
; %bb.66:                               ;   in Loop: Header=BB3_3 Depth=1
	v_or_b32_e32 v37, 0x10000, v43
	v_cmp_eq_u32_sdwa s[0:1], v43, v32 src0_sel:WORD_0 src1_sel:DWORD
	v_cndmask_b32_e64 v37, v37, v43, s[0:1]
; %bb.67:                               ;   in Loop: Header=BB3_3 Depth=1
	s_or_b64 exec, exec, s[26:27]
	v_and_b32_e32 v38, 0xffff0000, v38
	v_fma_f32 v43, v38, v49, v51
	v_and_b32_e32 v38, 0x7f800000, v43
	v_cmp_ne_u32_e64 s[0:1], s6, v38
                                        ; implicit-def: $vgpr38
	s_and_saveexec_b64 s[26:27], s[0:1]
	s_xor_b64 s[0:1], exec, s[26:27]
; %bb.68:                               ;   in Loop: Header=BB3_3 Depth=1
	v_bfe_u32 v38, v43, 16, 1
	v_add3_u32 v38, v43, v38, s29
                                        ; implicit-def: $vgpr43
; %bb.69:                               ;   in Loop: Header=BB3_3 Depth=1
	s_andn2_saveexec_b64 s[26:27], s[0:1]
; %bb.70:                               ;   in Loop: Header=BB3_3 Depth=1
	v_or_b32_e32 v38, 0x10000, v43
	v_cmp_eq_u32_sdwa s[0:1], v43, v32 src0_sel:WORD_0 src1_sel:DWORD
	v_cndmask_b32_e64 v38, v38, v43, s[0:1]
; %bb.71:                               ;   in Loop: Header=BB3_3 Depth=1
	s_or_b64 exec, exec, s[26:27]
	v_and_b32_e32 v39, 0xffff0000, v39
	v_fma_f32 v43, v39, v49, v51
	v_and_b32_e32 v39, 0x7f800000, v43
	v_cmp_ne_u32_e64 s[0:1], s6, v39
                                        ; implicit-def: $vgpr39
	s_and_saveexec_b64 s[26:27], s[0:1]
	s_xor_b64 s[0:1], exec, s[26:27]
; %bb.72:                               ;   in Loop: Header=BB3_3 Depth=1
	v_bfe_u32 v39, v43, 16, 1
	v_add3_u32 v39, v43, v39, s29
                                        ; implicit-def: $vgpr43
; %bb.73:                               ;   in Loop: Header=BB3_3 Depth=1
	s_andn2_saveexec_b64 s[26:27], s[0:1]
; %bb.74:                               ;   in Loop: Header=BB3_3 Depth=1
	v_or_b32_e32 v39, 0x10000, v43
	v_cmp_eq_u32_sdwa s[0:1], v43, v32 src0_sel:WORD_0 src1_sel:DWORD
	v_cndmask_b32_e64 v39, v39, v43, s[0:1]
; %bb.75:                               ;   in Loop: Header=BB3_3 Depth=1
	s_or_b64 exec, exec, s[26:27]
	v_lshrrev_b32_e32 v44, 4, v41
	;;#ASMSTART
	v_and_or_b32 v43, v41, v33, v34
	;;#ASMEND
	;;#ASMSTART
	v_and_or_b32 v45, v44, v33, v34
	;;#ASMEND
	v_lshrrev_b32_e32 v44, 8, v41
	v_lshrrev_b32_e32 v41, 12, v41
	;;#ASMSTART
	v_and_or_b32 v47, v44, v33, v34
	;;#ASMEND
	;;#ASMSTART
	v_and_or_b32 v52, v41, v33, v34
	;;#ASMEND
	v_lshlrev_b32_e32 v41, 16, v43
	v_add_f32_e32 v44, 0xc3080000, v41
	v_and_b32_e32 v41, 0x7f800000, v44
	v_cmp_ne_u32_e64 s[0:1], s6, v41
                                        ; implicit-def: $vgpr41
	s_and_saveexec_b64 s[26:27], s[0:1]
	s_xor_b64 s[0:1], exec, s[26:27]
; %bb.76:                               ;   in Loop: Header=BB3_3 Depth=1
	v_bfe_u32 v41, v44, 16, 1
	v_add3_u32 v41, v44, v41, s29
                                        ; implicit-def: $vgpr44
; %bb.77:                               ;   in Loop: Header=BB3_3 Depth=1
	s_andn2_saveexec_b64 s[26:27], s[0:1]
; %bb.78:                               ;   in Loop: Header=BB3_3 Depth=1
	v_or_b32_e32 v41, 0x10000, v44
	v_cmp_eq_u32_sdwa s[0:1], v44, v32 src0_sel:WORD_0 src1_sel:DWORD
	v_cndmask_b32_e64 v41, v41, v44, s[0:1]
; %bb.79:                               ;   in Loop: Header=BB3_3 Depth=1
	s_or_b64 exec, exec, s[26:27]
	v_and_b32_e32 v43, 0xffff0000, v43
	v_add_f32_e32 v44, 0xc3080000, v43
	v_and_b32_e32 v43, 0x7f800000, v44
	v_cmp_ne_u32_e64 s[0:1], s6, v43
                                        ; implicit-def: $vgpr43
	s_and_saveexec_b64 s[26:27], s[0:1]
	s_xor_b64 s[0:1], exec, s[26:27]
; %bb.80:                               ;   in Loop: Header=BB3_3 Depth=1
	v_bfe_u32 v43, v44, 16, 1
	v_add3_u32 v43, v44, v43, s29
                                        ; implicit-def: $vgpr44
; %bb.81:                               ;   in Loop: Header=BB3_3 Depth=1
	s_andn2_saveexec_b64 s[26:27], s[0:1]
; %bb.82:                               ;   in Loop: Header=BB3_3 Depth=1
	v_or_b32_e32 v43, 0x10000, v44
	v_cmp_eq_u32_sdwa s[0:1], v44, v32 src0_sel:WORD_0 src1_sel:DWORD
	v_cndmask_b32_e64 v43, v43, v44, s[0:1]
; %bb.83:                               ;   in Loop: Header=BB3_3 Depth=1
	s_or_b64 exec, exec, s[26:27]
	v_lshlrev_b32_e32 v44, 16, v45
	v_add_f32_e32 v46, 0xc3080000, v44
	v_and_b32_e32 v44, 0x7f800000, v46
	v_cmp_ne_u32_e64 s[0:1], s6, v44
                                        ; implicit-def: $vgpr44
	s_and_saveexec_b64 s[26:27], s[0:1]
	s_xor_b64 s[0:1], exec, s[26:27]
; %bb.84:                               ;   in Loop: Header=BB3_3 Depth=1
	v_bfe_u32 v44, v46, 16, 1
	v_add3_u32 v44, v46, v44, s29
                                        ; implicit-def: $vgpr46
; %bb.85:                               ;   in Loop: Header=BB3_3 Depth=1
	s_andn2_saveexec_b64 s[26:27], s[0:1]
; %bb.86:                               ;   in Loop: Header=BB3_3 Depth=1
	v_or_b32_e32 v44, 0x10000, v46
	v_cmp_eq_u32_sdwa s[0:1], v46, v32 src0_sel:WORD_0 src1_sel:DWORD
	v_cndmask_b32_e64 v44, v44, v46, s[0:1]
; %bb.87:                               ;   in Loop: Header=BB3_3 Depth=1
	s_or_b64 exec, exec, s[26:27]
	v_and_b32_e32 v45, 0xffff0000, v45
	v_add_f32_e32 v46, 0xc3080000, v45
	v_and_b32_e32 v45, 0x7f800000, v46
	v_cmp_ne_u32_e64 s[0:1], s6, v45
                                        ; implicit-def: $vgpr45
	s_and_saveexec_b64 s[26:27], s[0:1]
	s_xor_b64 s[0:1], exec, s[26:27]
; %bb.88:                               ;   in Loop: Header=BB3_3 Depth=1
	v_bfe_u32 v45, v46, 16, 1
	v_add3_u32 v45, v46, v45, s29
                                        ; implicit-def: $vgpr46
; %bb.89:                               ;   in Loop: Header=BB3_3 Depth=1
	s_andn2_saveexec_b64 s[26:27], s[0:1]
; %bb.90:                               ;   in Loop: Header=BB3_3 Depth=1
	v_or_b32_e32 v45, 0x10000, v46
	v_cmp_eq_u32_sdwa s[0:1], v46, v32 src0_sel:WORD_0 src1_sel:DWORD
	v_cndmask_b32_e64 v45, v45, v46, s[0:1]
; %bb.91:                               ;   in Loop: Header=BB3_3 Depth=1
	s_or_b64 exec, exec, s[26:27]
	v_lshlrev_b32_e32 v46, 16, v47
	v_add_f32_e32 v48, 0xc3080000, v46
	v_and_b32_e32 v46, 0x7f800000, v48
	v_cmp_ne_u32_e64 s[0:1], s6, v46
                                        ; implicit-def: $vgpr46
	s_and_saveexec_b64 s[26:27], s[0:1]
	s_xor_b64 s[0:1], exec, s[26:27]
; %bb.92:                               ;   in Loop: Header=BB3_3 Depth=1
	v_bfe_u32 v46, v48, 16, 1
	v_add3_u32 v46, v48, v46, s29
                                        ; implicit-def: $vgpr48
; %bb.93:                               ;   in Loop: Header=BB3_3 Depth=1
	s_andn2_saveexec_b64 s[26:27], s[0:1]
; %bb.94:                               ;   in Loop: Header=BB3_3 Depth=1
	v_or_b32_e32 v46, 0x10000, v48
	v_cmp_eq_u32_sdwa s[0:1], v48, v32 src0_sel:WORD_0 src1_sel:DWORD
	v_cndmask_b32_e64 v46, v46, v48, s[0:1]
; %bb.95:                               ;   in Loop: Header=BB3_3 Depth=1
	s_or_b64 exec, exec, s[26:27]
	v_and_b32_e32 v47, 0xffff0000, v47
	v_add_f32_e32 v48, 0xc3080000, v47
	v_and_b32_e32 v47, 0x7f800000, v48
	v_cmp_ne_u32_e64 s[0:1], s6, v47
                                        ; implicit-def: $vgpr47
	s_and_saveexec_b64 s[26:27], s[0:1]
	s_xor_b64 s[0:1], exec, s[26:27]
; %bb.96:                               ;   in Loop: Header=BB3_3 Depth=1
	v_bfe_u32 v47, v48, 16, 1
	v_add3_u32 v47, v48, v47, s29
                                        ; implicit-def: $vgpr48
; %bb.97:                               ;   in Loop: Header=BB3_3 Depth=1
	s_andn2_saveexec_b64 s[26:27], s[0:1]
; %bb.98:                               ;   in Loop: Header=BB3_3 Depth=1
	v_or_b32_e32 v47, 0x10000, v48
	v_cmp_eq_u32_sdwa s[0:1], v48, v32 src0_sel:WORD_0 src1_sel:DWORD
	v_cndmask_b32_e64 v47, v47, v48, s[0:1]
; %bb.99:                               ;   in Loop: Header=BB3_3 Depth=1
	s_or_b64 exec, exec, s[26:27]
	v_lshlrev_b32_e32 v48, 16, v52
	v_add_f32_e32 v53, 0xc3080000, v48
	v_and_b32_e32 v48, 0x7f800000, v53
	v_cmp_ne_u32_e64 s[0:1], s6, v48
                                        ; implicit-def: $vgpr48
	s_and_saveexec_b64 s[26:27], s[0:1]
	s_xor_b64 s[0:1], exec, s[26:27]
; %bb.100:                              ;   in Loop: Header=BB3_3 Depth=1
	v_bfe_u32 v48, v53, 16, 1
	v_add3_u32 v48, v53, v48, s29
                                        ; implicit-def: $vgpr53
; %bb.101:                              ;   in Loop: Header=BB3_3 Depth=1
	s_andn2_saveexec_b64 s[26:27], s[0:1]
; %bb.102:                              ;   in Loop: Header=BB3_3 Depth=1
	v_or_b32_e32 v48, 0x10000, v53
	v_cmp_eq_u32_sdwa s[0:1], v53, v32 src0_sel:WORD_0 src1_sel:DWORD
	v_cndmask_b32_e64 v48, v48, v53, s[0:1]
; %bb.103:                              ;   in Loop: Header=BB3_3 Depth=1
	s_or_b64 exec, exec, s[26:27]
	v_and_b32_e32 v52, 0xffff0000, v52
	v_add_f32_e32 v53, 0xc3080000, v52
	v_and_b32_e32 v52, 0x7f800000, v53
	v_cmp_ne_u32_e64 s[0:1], s6, v52
                                        ; implicit-def: $vgpr52
	s_and_saveexec_b64 s[26:27], s[0:1]
	s_xor_b64 s[0:1], exec, s[26:27]
; %bb.104:                              ;   in Loop: Header=BB3_3 Depth=1
	v_bfe_u32 v52, v53, 16, 1
	v_add3_u32 v52, v53, v52, s29
                                        ; implicit-def: $vgpr53
; %bb.105:                              ;   in Loop: Header=BB3_3 Depth=1
	s_andn2_saveexec_b64 s[26:27], s[0:1]
; %bb.106:                              ;   in Loop: Header=BB3_3 Depth=1
	v_or_b32_e32 v52, 0x10000, v53
	v_cmp_eq_u32_sdwa s[0:1], v53, v32 src0_sel:WORD_0 src1_sel:DWORD
	v_cndmask_b32_e64 v52, v52, v53, s[0:1]
; %bb.107:                              ;   in Loop: Header=BB3_3 Depth=1
	s_or_b64 exec, exec, s[26:27]
	v_and_b32_e32 v41, 0xffff0000, v41
	v_fma_f32 v53, v41, v49, v51
	v_and_b32_e32 v41, 0x7f800000, v53
	v_cmp_ne_u32_e64 s[0:1], s6, v41
                                        ; implicit-def: $vgpr41
	s_and_saveexec_b64 s[26:27], s[0:1]
	s_xor_b64 s[0:1], exec, s[26:27]
; %bb.108:                              ;   in Loop: Header=BB3_3 Depth=1
	v_bfe_u32 v41, v53, 16, 1
	v_add3_u32 v41, v53, v41, s29
                                        ; implicit-def: $vgpr53
; %bb.109:                              ;   in Loop: Header=BB3_3 Depth=1
	s_andn2_saveexec_b64 s[26:27], s[0:1]
; %bb.110:                              ;   in Loop: Header=BB3_3 Depth=1
	v_or_b32_e32 v41, 0x10000, v53
	v_cmp_eq_u32_sdwa s[0:1], v53, v32 src0_sel:WORD_0 src1_sel:DWORD
	v_cndmask_b32_e64 v41, v41, v53, s[0:1]
; %bb.111:                              ;   in Loop: Header=BB3_3 Depth=1
	s_or_b64 exec, exec, s[26:27]
	v_and_b32_e32 v43, 0xffff0000, v43
	v_fma_f32 v53, v43, v49, v51
	v_and_b32_e32 v43, 0x7f800000, v53
	v_cmp_ne_u32_e64 s[0:1], s6, v43
                                        ; implicit-def: $vgpr43
	s_and_saveexec_b64 s[26:27], s[0:1]
	s_xor_b64 s[0:1], exec, s[26:27]
; %bb.112:                              ;   in Loop: Header=BB3_3 Depth=1
	v_bfe_u32 v43, v53, 16, 1
	v_add3_u32 v43, v53, v43, s29
                                        ; implicit-def: $vgpr53
; %bb.113:                              ;   in Loop: Header=BB3_3 Depth=1
	s_andn2_saveexec_b64 s[26:27], s[0:1]
; %bb.114:                              ;   in Loop: Header=BB3_3 Depth=1
	v_or_b32_e32 v43, 0x10000, v53
	v_cmp_eq_u32_sdwa s[0:1], v53, v32 src0_sel:WORD_0 src1_sel:DWORD
	v_cndmask_b32_e64 v43, v43, v53, s[0:1]
; %bb.115:                              ;   in Loop: Header=BB3_3 Depth=1
	s_or_b64 exec, exec, s[26:27]
	v_and_b32_e32 v44, 0xffff0000, v44
	v_fma_f32 v53, v44, v49, v51
	v_and_b32_e32 v44, 0x7f800000, v53
	v_cmp_ne_u32_e64 s[0:1], s6, v44
                                        ; implicit-def: $vgpr44
	s_and_saveexec_b64 s[26:27], s[0:1]
	s_xor_b64 s[0:1], exec, s[26:27]
; %bb.116:                              ;   in Loop: Header=BB3_3 Depth=1
	v_bfe_u32 v44, v53, 16, 1
	v_add3_u32 v44, v53, v44, s29
                                        ; implicit-def: $vgpr53
; %bb.117:                              ;   in Loop: Header=BB3_3 Depth=1
	s_andn2_saveexec_b64 s[26:27], s[0:1]
; %bb.118:                              ;   in Loop: Header=BB3_3 Depth=1
	v_or_b32_e32 v44, 0x10000, v53
	v_cmp_eq_u32_sdwa s[0:1], v53, v32 src0_sel:WORD_0 src1_sel:DWORD
	v_cndmask_b32_e64 v44, v44, v53, s[0:1]
; %bb.119:                              ;   in Loop: Header=BB3_3 Depth=1
	s_or_b64 exec, exec, s[26:27]
	v_and_b32_e32 v45, 0xffff0000, v45
	v_fma_f32 v53, v45, v49, v51
	v_and_b32_e32 v45, 0x7f800000, v53
	v_cmp_ne_u32_e64 s[0:1], s6, v45
                                        ; implicit-def: $vgpr45
	s_and_saveexec_b64 s[26:27], s[0:1]
	s_xor_b64 s[0:1], exec, s[26:27]
; %bb.120:                              ;   in Loop: Header=BB3_3 Depth=1
	v_bfe_u32 v45, v53, 16, 1
	v_add3_u32 v45, v53, v45, s29
                                        ; implicit-def: $vgpr53
; %bb.121:                              ;   in Loop: Header=BB3_3 Depth=1
	s_andn2_saveexec_b64 s[26:27], s[0:1]
; %bb.122:                              ;   in Loop: Header=BB3_3 Depth=1
	v_or_b32_e32 v45, 0x10000, v53
	v_cmp_eq_u32_sdwa s[0:1], v53, v32 src0_sel:WORD_0 src1_sel:DWORD
	v_cndmask_b32_e64 v45, v45, v53, s[0:1]
; %bb.123:                              ;   in Loop: Header=BB3_3 Depth=1
	s_or_b64 exec, exec, s[26:27]
	v_and_b32_e32 v46, 0xffff0000, v46
	v_fma_f32 v53, v46, v49, v51
	v_and_b32_e32 v46, 0x7f800000, v53
	v_cmp_ne_u32_e64 s[0:1], s6, v46
                                        ; implicit-def: $vgpr46
	s_and_saveexec_b64 s[26:27], s[0:1]
	s_xor_b64 s[0:1], exec, s[26:27]
; %bb.124:                              ;   in Loop: Header=BB3_3 Depth=1
	v_bfe_u32 v46, v53, 16, 1
	v_add3_u32 v46, v53, v46, s29
                                        ; implicit-def: $vgpr53
; %bb.125:                              ;   in Loop: Header=BB3_3 Depth=1
	s_andn2_saveexec_b64 s[26:27], s[0:1]
; %bb.126:                              ;   in Loop: Header=BB3_3 Depth=1
	v_or_b32_e32 v46, 0x10000, v53
	v_cmp_eq_u32_sdwa s[0:1], v53, v32 src0_sel:WORD_0 src1_sel:DWORD
	v_cndmask_b32_e64 v46, v46, v53, s[0:1]
; %bb.127:                              ;   in Loop: Header=BB3_3 Depth=1
	s_or_b64 exec, exec, s[26:27]
	v_and_b32_e32 v47, 0xffff0000, v47
	v_fma_f32 v53, v47, v49, v51
	v_and_b32_e32 v47, 0x7f800000, v53
	v_cmp_ne_u32_e64 s[0:1], s6, v47
                                        ; implicit-def: $vgpr47
	s_and_saveexec_b64 s[26:27], s[0:1]
	s_xor_b64 s[0:1], exec, s[26:27]
; %bb.128:                              ;   in Loop: Header=BB3_3 Depth=1
	v_bfe_u32 v47, v53, 16, 1
	v_add3_u32 v47, v53, v47, s29
                                        ; implicit-def: $vgpr53
; %bb.129:                              ;   in Loop: Header=BB3_3 Depth=1
	s_andn2_saveexec_b64 s[26:27], s[0:1]
; %bb.130:                              ;   in Loop: Header=BB3_3 Depth=1
	v_or_b32_e32 v47, 0x10000, v53
	v_cmp_eq_u32_sdwa s[0:1], v53, v32 src0_sel:WORD_0 src1_sel:DWORD
	v_cndmask_b32_e64 v47, v47, v53, s[0:1]
; %bb.131:                              ;   in Loop: Header=BB3_3 Depth=1
	s_or_b64 exec, exec, s[26:27]
	v_and_b32_e32 v48, 0xffff0000, v48
	v_fma_f32 v53, v48, v49, v51
	v_and_b32_e32 v48, 0x7f800000, v53
	v_cmp_ne_u32_e64 s[0:1], s6, v48
                                        ; implicit-def: $vgpr48
	s_and_saveexec_b64 s[26:27], s[0:1]
	s_xor_b64 s[0:1], exec, s[26:27]
; %bb.132:                              ;   in Loop: Header=BB3_3 Depth=1
	v_bfe_u32 v48, v53, 16, 1
	v_add3_u32 v48, v53, v48, s29
                                        ; implicit-def: $vgpr53
; %bb.133:                              ;   in Loop: Header=BB3_3 Depth=1
	s_andn2_saveexec_b64 s[26:27], s[0:1]
; %bb.134:                              ;   in Loop: Header=BB3_3 Depth=1
	v_or_b32_e32 v48, 0x10000, v53
	v_cmp_eq_u32_sdwa s[0:1], v53, v32 src0_sel:WORD_0 src1_sel:DWORD
	v_cndmask_b32_e64 v48, v48, v53, s[0:1]
; %bb.135:                              ;   in Loop: Header=BB3_3 Depth=1
	s_or_b64 exec, exec, s[26:27]
	v_and_b32_e32 v52, 0xffff0000, v52
	v_fmac_f32_e32 v51, v52, v49
	v_and_b32_e32 v49, 0x7f800000, v51
	v_cmp_ne_u32_e64 s[0:1], s6, v49
                                        ; implicit-def: $vgpr49
	s_and_saveexec_b64 s[26:27], s[0:1]
	s_xor_b64 s[0:1], exec, s[26:27]
; %bb.136:                              ;   in Loop: Header=BB3_3 Depth=1
	v_bfe_u32 v49, v51, 16, 1
	v_add3_u32 v49, v51, v49, s29
                                        ; implicit-def: $vgpr51
; %bb.137:                              ;   in Loop: Header=BB3_3 Depth=1
	s_andn2_saveexec_b64 s[26:27], s[0:1]
; %bb.138:                              ;   in Loop: Header=BB3_3 Depth=1
	v_or_b32_e32 v49, 0x10000, v51
	v_cmp_eq_u32_sdwa s[0:1], v51, v32 src0_sel:WORD_0 src1_sel:DWORD
	v_cndmask_b32_e64 v49, v49, v51, s[0:1]
; %bb.139:                              ;   in Loop: Header=BB3_3 Depth=1
	s_or_b64 exec, exec, s[26:27]
	v_lshrrev_b32_e32 v51, 4, v50
	;;#ASMSTART
	v_and_or_b32 v52, v50, v33, v34
	;;#ASMEND
	;;#ASMSTART
	v_and_or_b32 v54, v51, v33, v34
	;;#ASMEND
	v_lshrrev_b32_e32 v51, 8, v50
	v_lshrrev_b32_e32 v50, 12, v50
	;;#ASMSTART
	v_and_or_b32 v56, v51, v33, v34
	;;#ASMEND
	;;#ASMSTART
	v_and_or_b32 v53, v50, v33, v34
	;;#ASMEND
	v_lshlrev_b32_e32 v50, 16, v52
	v_add_f32_e32 v50, 0xc3080000, v50
	v_and_b32_e32 v51, 0x7f800000, v50
	v_cmp_ne_u32_e64 s[0:1], s6, v51
                                        ; implicit-def: $vgpr51
	s_and_saveexec_b64 s[26:27], s[0:1]
	s_xor_b64 s[0:1], exec, s[26:27]
; %bb.140:                              ;   in Loop: Header=BB3_3 Depth=1
	v_bfe_u32 v51, v50, 16, 1
	v_add3_u32 v51, v50, v51, s29
                                        ; implicit-def: $vgpr50
; %bb.141:                              ;   in Loop: Header=BB3_3 Depth=1
	s_andn2_saveexec_b64 s[26:27], s[0:1]
; %bb.142:                              ;   in Loop: Header=BB3_3 Depth=1
	v_or_b32_e32 v51, 0x10000, v50
	v_cmp_eq_u32_sdwa s[0:1], v50, v32 src0_sel:WORD_0 src1_sel:DWORD
	v_cndmask_b32_e64 v51, v51, v50, s[0:1]
; %bb.143:                              ;   in Loop: Header=BB3_3 Depth=1
	s_or_b64 exec, exec, s[26:27]
	v_and_b32_e32 v50, 0xffff0000, v52
	v_add_f32_e32 v52, 0xc3080000, v50
	v_and_b32_e32 v50, 0x7f800000, v52
	v_cmp_ne_u32_e64 s[0:1], s6, v50
                                        ; implicit-def: $vgpr50
	s_and_saveexec_b64 s[26:27], s[0:1]
	s_xor_b64 s[0:1], exec, s[26:27]
; %bb.144:                              ;   in Loop: Header=BB3_3 Depth=1
	v_bfe_u32 v50, v52, 16, 1
	v_add3_u32 v50, v52, v50, s29
                                        ; implicit-def: $vgpr52
; %bb.145:                              ;   in Loop: Header=BB3_3 Depth=1
	s_andn2_saveexec_b64 s[26:27], s[0:1]
; %bb.146:                              ;   in Loop: Header=BB3_3 Depth=1
	v_or_b32_e32 v50, 0x10000, v52
	v_cmp_eq_u32_sdwa s[0:1], v52, v32 src0_sel:WORD_0 src1_sel:DWORD
	v_cndmask_b32_e64 v50, v50, v52, s[0:1]
; %bb.147:                              ;   in Loop: Header=BB3_3 Depth=1
	s_or_b64 exec, exec, s[26:27]
	v_lshlrev_b32_e32 v52, 16, v54
	v_add_f32_e32 v55, 0xc3080000, v52
	v_and_b32_e32 v52, 0x7f800000, v55
	v_cmp_ne_u32_e64 s[0:1], s6, v52
                                        ; implicit-def: $vgpr52
	s_and_saveexec_b64 s[26:27], s[0:1]
	s_xor_b64 s[0:1], exec, s[26:27]
; %bb.148:                              ;   in Loop: Header=BB3_3 Depth=1
	v_bfe_u32 v52, v55, 16, 1
	v_add3_u32 v52, v55, v52, s29
                                        ; implicit-def: $vgpr55
; %bb.149:                              ;   in Loop: Header=BB3_3 Depth=1
	s_andn2_saveexec_b64 s[26:27], s[0:1]
; %bb.150:                              ;   in Loop: Header=BB3_3 Depth=1
	v_or_b32_e32 v52, 0x10000, v55
	v_cmp_eq_u32_sdwa s[0:1], v55, v32 src0_sel:WORD_0 src1_sel:DWORD
	v_cndmask_b32_e64 v52, v52, v55, s[0:1]
; %bb.151:                              ;   in Loop: Header=BB3_3 Depth=1
	s_or_b64 exec, exec, s[26:27]
	v_and_b32_e32 v54, 0xffff0000, v54
	v_add_f32_e32 v55, 0xc3080000, v54
	v_and_b32_e32 v54, 0x7f800000, v55
	v_cmp_ne_u32_e64 s[0:1], s6, v54
                                        ; implicit-def: $vgpr54
	s_and_saveexec_b64 s[26:27], s[0:1]
	s_xor_b64 s[0:1], exec, s[26:27]
; %bb.152:                              ;   in Loop: Header=BB3_3 Depth=1
	v_bfe_u32 v54, v55, 16, 1
	v_add3_u32 v54, v55, v54, s29
                                        ; implicit-def: $vgpr55
; %bb.153:                              ;   in Loop: Header=BB3_3 Depth=1
	s_andn2_saveexec_b64 s[26:27], s[0:1]
; %bb.154:                              ;   in Loop: Header=BB3_3 Depth=1
	v_or_b32_e32 v54, 0x10000, v55
	v_cmp_eq_u32_sdwa s[0:1], v55, v32 src0_sel:WORD_0 src1_sel:DWORD
	v_cndmask_b32_e64 v54, v54, v55, s[0:1]
; %bb.155:                              ;   in Loop: Header=BB3_3 Depth=1
	s_or_b64 exec, exec, s[26:27]
	v_lshlrev_b32_e32 v55, 16, v56
	v_add_f32_e32 v57, 0xc3080000, v55
	v_and_b32_e32 v55, 0x7f800000, v57
	v_cmp_ne_u32_e64 s[0:1], s6, v55
                                        ; implicit-def: $vgpr55
	s_and_saveexec_b64 s[26:27], s[0:1]
	s_xor_b64 s[0:1], exec, s[26:27]
; %bb.156:                              ;   in Loop: Header=BB3_3 Depth=1
	v_bfe_u32 v55, v57, 16, 1
	v_add3_u32 v55, v57, v55, s29
                                        ; implicit-def: $vgpr57
; %bb.157:                              ;   in Loop: Header=BB3_3 Depth=1
	s_andn2_saveexec_b64 s[26:27], s[0:1]
; %bb.158:                              ;   in Loop: Header=BB3_3 Depth=1
	v_or_b32_e32 v55, 0x10000, v57
	v_cmp_eq_u32_sdwa s[0:1], v57, v32 src0_sel:WORD_0 src1_sel:DWORD
	v_cndmask_b32_e64 v55, v55, v57, s[0:1]
; %bb.159:                              ;   in Loop: Header=BB3_3 Depth=1
	s_or_b64 exec, exec, s[26:27]
	v_and_b32_e32 v56, 0xffff0000, v56
	v_add_f32_e32 v57, 0xc3080000, v56
	v_and_b32_e32 v56, 0x7f800000, v57
	v_cmp_ne_u32_e64 s[0:1], s6, v56
                                        ; implicit-def: $vgpr56
	s_and_saveexec_b64 s[26:27], s[0:1]
	s_xor_b64 s[0:1], exec, s[26:27]
; %bb.160:                              ;   in Loop: Header=BB3_3 Depth=1
	v_bfe_u32 v56, v57, 16, 1
	v_add3_u32 v56, v57, v56, s29
                                        ; implicit-def: $vgpr57
; %bb.161:                              ;   in Loop: Header=BB3_3 Depth=1
	s_andn2_saveexec_b64 s[26:27], s[0:1]
; %bb.162:                              ;   in Loop: Header=BB3_3 Depth=1
	v_or_b32_e32 v56, 0x10000, v57
	v_cmp_eq_u32_sdwa s[0:1], v57, v32 src0_sel:WORD_0 src1_sel:DWORD
	v_cndmask_b32_e64 v56, v56, v57, s[0:1]
; %bb.163:                              ;   in Loop: Header=BB3_3 Depth=1
	s_or_b64 exec, exec, s[26:27]
	v_lshlrev_b32_e32 v57, 16, v53
	v_add_f32_e32 v58, 0xc3080000, v57
	v_and_b32_e32 v57, 0x7f800000, v58
	v_cmp_ne_u32_e64 s[0:1], s6, v57
                                        ; implicit-def: $vgpr57
	s_and_saveexec_b64 s[26:27], s[0:1]
	s_xor_b64 s[0:1], exec, s[26:27]
; %bb.164:                              ;   in Loop: Header=BB3_3 Depth=1
	v_bfe_u32 v57, v58, 16, 1
	v_add3_u32 v57, v58, v57, s29
                                        ; implicit-def: $vgpr58
; %bb.165:                              ;   in Loop: Header=BB3_3 Depth=1
	s_andn2_saveexec_b64 s[26:27], s[0:1]
; %bb.166:                              ;   in Loop: Header=BB3_3 Depth=1
	v_or_b32_e32 v57, 0x10000, v58
	v_cmp_eq_u32_sdwa s[0:1], v58, v32 src0_sel:WORD_0 src1_sel:DWORD
	v_cndmask_b32_e64 v57, v57, v58, s[0:1]
; %bb.167:                              ;   in Loop: Header=BB3_3 Depth=1
	s_or_b64 exec, exec, s[26:27]
	v_and_b32_e32 v53, 0xffff0000, v53
	v_add_f32_e32 v53, 0xc3080000, v53
	v_and_b32_e32 v58, 0x7f800000, v53
	v_cmp_ne_u32_e64 s[0:1], s6, v58
                                        ; implicit-def: $vgpr58
	s_and_saveexec_b64 s[26:27], s[0:1]
	s_xor_b64 s[0:1], exec, s[26:27]
; %bb.168:                              ;   in Loop: Header=BB3_3 Depth=1
	v_bfe_u32 v58, v53, 16, 1
	v_add3_u32 v58, v53, v58, s29
                                        ; implicit-def: $vgpr53
; %bb.169:                              ;   in Loop: Header=BB3_3 Depth=1
	s_andn2_saveexec_b64 s[26:27], s[0:1]
; %bb.170:                              ;   in Loop: Header=BB3_3 Depth=1
	v_or_b32_e32 v58, 0x10000, v53
	v_cmp_eq_u32_sdwa s[0:1], v53, v32 src0_sel:WORD_0 src1_sel:DWORD
	v_cndmask_b32_e64 v58, v58, v53, s[0:1]
; %bb.171:                              ;   in Loop: Header=BB3_3 Depth=1
	s_or_b64 exec, exec, s[26:27]
	v_and_b32_e32 v59, 0xffff0000, v51
	s_waitcnt vmcnt(0)
	v_lshlrev_b32_e32 v53, 16, v42
	v_and_b32_e32 v51, 0xffff0000, v42
	v_fma_f32 v59, v59, v53, v51
	v_and_b32_e32 v42, 0x7f800000, v59
	v_cmp_ne_u32_e64 s[0:1], s6, v42
                                        ; implicit-def: $vgpr42
	s_and_saveexec_b64 s[26:27], s[0:1]
	s_xor_b64 s[0:1], exec, s[26:27]
; %bb.172:                              ;   in Loop: Header=BB3_3 Depth=1
	v_bfe_u32 v42, v59, 16, 1
	v_add3_u32 v42, v59, v42, s29
                                        ; implicit-def: $vgpr59
; %bb.173:                              ;   in Loop: Header=BB3_3 Depth=1
	s_andn2_saveexec_b64 s[26:27], s[0:1]
; %bb.174:                              ;   in Loop: Header=BB3_3 Depth=1
	v_or_b32_e32 v42, 0x10000, v59
	v_cmp_eq_u32_sdwa s[0:1], v59, v32 src0_sel:WORD_0 src1_sel:DWORD
	v_cndmask_b32_e64 v42, v42, v59, s[0:1]
; %bb.175:                              ;   in Loop: Header=BB3_3 Depth=1
	s_or_b64 exec, exec, s[26:27]
	v_and_b32_e32 v50, 0xffff0000, v50
	v_fma_f32 v59, v50, v53, v51
	v_and_b32_e32 v50, 0x7f800000, v59
	v_cmp_ne_u32_e64 s[0:1], s6, v50
                                        ; implicit-def: $vgpr50
	s_and_saveexec_b64 s[26:27], s[0:1]
	s_xor_b64 s[0:1], exec, s[26:27]
; %bb.176:                              ;   in Loop: Header=BB3_3 Depth=1
	v_bfe_u32 v50, v59, 16, 1
	v_add3_u32 v50, v59, v50, s29
                                        ; implicit-def: $vgpr59
; %bb.177:                              ;   in Loop: Header=BB3_3 Depth=1
	s_andn2_saveexec_b64 s[26:27], s[0:1]
; %bb.178:                              ;   in Loop: Header=BB3_3 Depth=1
	v_or_b32_e32 v50, 0x10000, v59
	v_cmp_eq_u32_sdwa s[0:1], v59, v32 src0_sel:WORD_0 src1_sel:DWORD
	v_cndmask_b32_e64 v50, v50, v59, s[0:1]
; %bb.179:                              ;   in Loop: Header=BB3_3 Depth=1
	s_or_b64 exec, exec, s[26:27]
	v_and_b32_e32 v52, 0xffff0000, v52
	v_fma_f32 v59, v52, v53, v51
	v_and_b32_e32 v52, 0x7f800000, v59
	v_cmp_ne_u32_e64 s[0:1], s6, v52
                                        ; implicit-def: $vgpr52
	s_and_saveexec_b64 s[26:27], s[0:1]
	s_xor_b64 s[0:1], exec, s[26:27]
; %bb.180:                              ;   in Loop: Header=BB3_3 Depth=1
	v_bfe_u32 v52, v59, 16, 1
	v_add3_u32 v52, v59, v52, s29
                                        ; implicit-def: $vgpr59
; %bb.181:                              ;   in Loop: Header=BB3_3 Depth=1
	s_andn2_saveexec_b64 s[26:27], s[0:1]
; %bb.182:                              ;   in Loop: Header=BB3_3 Depth=1
	v_or_b32_e32 v52, 0x10000, v59
	v_cmp_eq_u32_sdwa s[0:1], v59, v32 src0_sel:WORD_0 src1_sel:DWORD
	v_cndmask_b32_e64 v52, v52, v59, s[0:1]
; %bb.183:                              ;   in Loop: Header=BB3_3 Depth=1
	s_or_b64 exec, exec, s[26:27]
	v_and_b32_e32 v54, 0xffff0000, v54
	v_fma_f32 v59, v54, v53, v51
	v_and_b32_e32 v54, 0x7f800000, v59
	v_cmp_ne_u32_e64 s[0:1], s6, v54
                                        ; implicit-def: $vgpr54
	s_and_saveexec_b64 s[26:27], s[0:1]
	s_xor_b64 s[0:1], exec, s[26:27]
; %bb.184:                              ;   in Loop: Header=BB3_3 Depth=1
	v_bfe_u32 v54, v59, 16, 1
	v_add3_u32 v54, v59, v54, s29
                                        ; implicit-def: $vgpr59
; %bb.185:                              ;   in Loop: Header=BB3_3 Depth=1
	s_andn2_saveexec_b64 s[26:27], s[0:1]
; %bb.186:                              ;   in Loop: Header=BB3_3 Depth=1
	v_or_b32_e32 v54, 0x10000, v59
	v_cmp_eq_u32_sdwa s[0:1], v59, v32 src0_sel:WORD_0 src1_sel:DWORD
	v_cndmask_b32_e64 v54, v54, v59, s[0:1]
; %bb.187:                              ;   in Loop: Header=BB3_3 Depth=1
	s_or_b64 exec, exec, s[26:27]
	v_and_b32_e32 v55, 0xffff0000, v55
	v_fma_f32 v59, v55, v53, v51
	v_and_b32_e32 v55, 0x7f800000, v59
	v_cmp_ne_u32_e64 s[0:1], s6, v55
                                        ; implicit-def: $vgpr55
	s_and_saveexec_b64 s[26:27], s[0:1]
	s_xor_b64 s[0:1], exec, s[26:27]
; %bb.188:                              ;   in Loop: Header=BB3_3 Depth=1
	v_bfe_u32 v55, v59, 16, 1
	v_add3_u32 v55, v59, v55, s29
                                        ; implicit-def: $vgpr59
; %bb.189:                              ;   in Loop: Header=BB3_3 Depth=1
	s_andn2_saveexec_b64 s[26:27], s[0:1]
; %bb.190:                              ;   in Loop: Header=BB3_3 Depth=1
	v_or_b32_e32 v55, 0x10000, v59
	v_cmp_eq_u32_sdwa s[0:1], v59, v32 src0_sel:WORD_0 src1_sel:DWORD
	v_cndmask_b32_e64 v55, v55, v59, s[0:1]
; %bb.191:                              ;   in Loop: Header=BB3_3 Depth=1
	s_or_b64 exec, exec, s[26:27]
	v_and_b32_e32 v56, 0xffff0000, v56
	v_fma_f32 v59, v56, v53, v51
	v_and_b32_e32 v56, 0x7f800000, v59
	v_cmp_ne_u32_e64 s[0:1], s6, v56
                                        ; implicit-def: $vgpr56
	s_and_saveexec_b64 s[26:27], s[0:1]
	s_xor_b64 s[0:1], exec, s[26:27]
; %bb.192:                              ;   in Loop: Header=BB3_3 Depth=1
	v_bfe_u32 v56, v59, 16, 1
	v_add3_u32 v56, v59, v56, s29
                                        ; implicit-def: $vgpr59
; %bb.193:                              ;   in Loop: Header=BB3_3 Depth=1
	s_andn2_saveexec_b64 s[26:27], s[0:1]
; %bb.194:                              ;   in Loop: Header=BB3_3 Depth=1
	v_or_b32_e32 v56, 0x10000, v59
	v_cmp_eq_u32_sdwa s[0:1], v59, v32 src0_sel:WORD_0 src1_sel:DWORD
	v_cndmask_b32_e64 v56, v56, v59, s[0:1]
; %bb.195:                              ;   in Loop: Header=BB3_3 Depth=1
	s_or_b64 exec, exec, s[26:27]
	v_and_b32_e32 v57, 0xffff0000, v57
	v_fma_f32 v59, v57, v53, v51
	v_and_b32_e32 v57, 0x7f800000, v59
	v_cmp_ne_u32_e64 s[0:1], s6, v57
                                        ; implicit-def: $vgpr57
	s_and_saveexec_b64 s[26:27], s[0:1]
	s_xor_b64 s[0:1], exec, s[26:27]
; %bb.196:                              ;   in Loop: Header=BB3_3 Depth=1
	v_bfe_u32 v57, v59, 16, 1
	v_add3_u32 v57, v59, v57, s29
                                        ; implicit-def: $vgpr59
; %bb.197:                              ;   in Loop: Header=BB3_3 Depth=1
	s_andn2_saveexec_b64 s[26:27], s[0:1]
; %bb.198:                              ;   in Loop: Header=BB3_3 Depth=1
	v_or_b32_e32 v57, 0x10000, v59
	v_cmp_eq_u32_sdwa s[0:1], v59, v32 src0_sel:WORD_0 src1_sel:DWORD
	v_cndmask_b32_e64 v57, v57, v59, s[0:1]
; %bb.199:                              ;   in Loop: Header=BB3_3 Depth=1
	s_or_b64 exec, exec, s[26:27]
	v_and_b32_e32 v58, 0xffff0000, v58
	v_fma_f32 v59, v58, v53, v51
	v_and_b32_e32 v58, 0x7f800000, v59
	v_cmp_ne_u32_e64 s[0:1], s6, v58
                                        ; implicit-def: $vgpr58
	s_and_saveexec_b64 s[26:27], s[0:1]
	s_xor_b64 s[0:1], exec, s[26:27]
; %bb.200:                              ;   in Loop: Header=BB3_3 Depth=1
	v_bfe_u32 v58, v59, 16, 1
	v_add3_u32 v58, v59, v58, s29
                                        ; implicit-def: $vgpr59
; %bb.201:                              ;   in Loop: Header=BB3_3 Depth=1
	s_andn2_saveexec_b64 s[26:27], s[0:1]
; %bb.202:                              ;   in Loop: Header=BB3_3 Depth=1
	v_or_b32_e32 v58, 0x10000, v59
	v_cmp_eq_u32_sdwa s[0:1], v59, v32 src0_sel:WORD_0 src1_sel:DWORD
	v_cndmask_b32_e64 v58, v58, v59, s[0:1]
; %bb.203:                              ;   in Loop: Header=BB3_3 Depth=1
	s_or_b64 exec, exec, s[26:27]
	v_lshrrev_b32_e32 v60, 4, v40
	;;#ASMSTART
	v_and_or_b32 v59, v40, v33, v34
	;;#ASMEND
	;;#ASMSTART
	v_and_or_b32 v61, v60, v33, v34
	;;#ASMEND
	v_lshrrev_b32_e32 v60, 8, v40
	v_lshrrev_b32_e32 v40, 12, v40
	;;#ASMSTART
	v_and_or_b32 v63, v60, v33, v34
	;;#ASMEND
	;;#ASMSTART
	v_and_or_b32 v65, v40, v33, v34
	;;#ASMEND
	v_lshlrev_b32_e32 v40, 16, v59
	v_add_f32_e32 v60, 0xc3080000, v40
	v_and_b32_e32 v40, 0x7f800000, v60
	v_cmp_ne_u32_e64 s[0:1], s6, v40
                                        ; implicit-def: $vgpr40
	s_and_saveexec_b64 s[26:27], s[0:1]
	s_xor_b64 s[0:1], exec, s[26:27]
; %bb.204:                              ;   in Loop: Header=BB3_3 Depth=1
	v_bfe_u32 v40, v60, 16, 1
	v_add3_u32 v40, v60, v40, s29
                                        ; implicit-def: $vgpr60
; %bb.205:                              ;   in Loop: Header=BB3_3 Depth=1
	s_andn2_saveexec_b64 s[26:27], s[0:1]
; %bb.206:                              ;   in Loop: Header=BB3_3 Depth=1
	v_or_b32_e32 v40, 0x10000, v60
	v_cmp_eq_u32_sdwa s[0:1], v60, v32 src0_sel:WORD_0 src1_sel:DWORD
	v_cndmask_b32_e64 v40, v40, v60, s[0:1]
; %bb.207:                              ;   in Loop: Header=BB3_3 Depth=1
	s_or_b64 exec, exec, s[26:27]
	v_and_b32_e32 v59, 0xffff0000, v59
	v_add_f32_e32 v60, 0xc3080000, v59
	v_and_b32_e32 v59, 0x7f800000, v60
	v_cmp_ne_u32_e64 s[0:1], s6, v59
                                        ; implicit-def: $vgpr59
	s_and_saveexec_b64 s[26:27], s[0:1]
	s_xor_b64 s[0:1], exec, s[26:27]
; %bb.208:                              ;   in Loop: Header=BB3_3 Depth=1
	v_bfe_u32 v59, v60, 16, 1
	v_add3_u32 v59, v60, v59, s29
                                        ; implicit-def: $vgpr60
; %bb.209:                              ;   in Loop: Header=BB3_3 Depth=1
	s_andn2_saveexec_b64 s[26:27], s[0:1]
; %bb.210:                              ;   in Loop: Header=BB3_3 Depth=1
	v_or_b32_e32 v59, 0x10000, v60
	v_cmp_eq_u32_sdwa s[0:1], v60, v32 src0_sel:WORD_0 src1_sel:DWORD
	v_cndmask_b32_e64 v59, v59, v60, s[0:1]
; %bb.211:                              ;   in Loop: Header=BB3_3 Depth=1
	s_or_b64 exec, exec, s[26:27]
	v_lshlrev_b32_e32 v60, 16, v61
	v_add_f32_e32 v62, 0xc3080000, v60
	v_and_b32_e32 v60, 0x7f800000, v62
	v_cmp_ne_u32_e64 s[0:1], s6, v60
                                        ; implicit-def: $vgpr60
	s_and_saveexec_b64 s[26:27], s[0:1]
	s_xor_b64 s[0:1], exec, s[26:27]
; %bb.212:                              ;   in Loop: Header=BB3_3 Depth=1
	v_bfe_u32 v60, v62, 16, 1
	v_add3_u32 v60, v62, v60, s29
                                        ; implicit-def: $vgpr62
; %bb.213:                              ;   in Loop: Header=BB3_3 Depth=1
	s_andn2_saveexec_b64 s[26:27], s[0:1]
; %bb.214:                              ;   in Loop: Header=BB3_3 Depth=1
	v_or_b32_e32 v60, 0x10000, v62
	v_cmp_eq_u32_sdwa s[0:1], v62, v32 src0_sel:WORD_0 src1_sel:DWORD
	v_cndmask_b32_e64 v60, v60, v62, s[0:1]
; %bb.215:                              ;   in Loop: Header=BB3_3 Depth=1
	s_or_b64 exec, exec, s[26:27]
	v_and_b32_e32 v61, 0xffff0000, v61
	v_add_f32_e32 v62, 0xc3080000, v61
	v_and_b32_e32 v61, 0x7f800000, v62
	v_cmp_ne_u32_e64 s[0:1], s6, v61
                                        ; implicit-def: $vgpr61
	s_and_saveexec_b64 s[26:27], s[0:1]
	s_xor_b64 s[0:1], exec, s[26:27]
; %bb.216:                              ;   in Loop: Header=BB3_3 Depth=1
	v_bfe_u32 v61, v62, 16, 1
	v_add3_u32 v61, v62, v61, s29
                                        ; implicit-def: $vgpr62
; %bb.217:                              ;   in Loop: Header=BB3_3 Depth=1
	s_andn2_saveexec_b64 s[26:27], s[0:1]
; %bb.218:                              ;   in Loop: Header=BB3_3 Depth=1
	v_or_b32_e32 v61, 0x10000, v62
	v_cmp_eq_u32_sdwa s[0:1], v62, v32 src0_sel:WORD_0 src1_sel:DWORD
	v_cndmask_b32_e64 v61, v61, v62, s[0:1]
; %bb.219:                              ;   in Loop: Header=BB3_3 Depth=1
	s_or_b64 exec, exec, s[26:27]
	v_lshlrev_b32_e32 v62, 16, v63
	v_add_f32_e32 v64, 0xc3080000, v62
	v_and_b32_e32 v62, 0x7f800000, v64
	v_cmp_ne_u32_e64 s[0:1], s6, v62
                                        ; implicit-def: $vgpr62
	s_and_saveexec_b64 s[26:27], s[0:1]
	s_xor_b64 s[0:1], exec, s[26:27]
; %bb.220:                              ;   in Loop: Header=BB3_3 Depth=1
	v_bfe_u32 v62, v64, 16, 1
	v_add3_u32 v62, v64, v62, s29
                                        ; implicit-def: $vgpr64
; %bb.221:                              ;   in Loop: Header=BB3_3 Depth=1
	s_andn2_saveexec_b64 s[26:27], s[0:1]
; %bb.222:                              ;   in Loop: Header=BB3_3 Depth=1
	v_or_b32_e32 v62, 0x10000, v64
	v_cmp_eq_u32_sdwa s[0:1], v64, v32 src0_sel:WORD_0 src1_sel:DWORD
	v_cndmask_b32_e64 v62, v62, v64, s[0:1]
; %bb.223:                              ;   in Loop: Header=BB3_3 Depth=1
	s_or_b64 exec, exec, s[26:27]
	v_and_b32_e32 v63, 0xffff0000, v63
	v_add_f32_e32 v64, 0xc3080000, v63
	v_and_b32_e32 v63, 0x7f800000, v64
	v_cmp_ne_u32_e64 s[0:1], s6, v63
                                        ; implicit-def: $vgpr63
	s_and_saveexec_b64 s[26:27], s[0:1]
	s_xor_b64 s[0:1], exec, s[26:27]
; %bb.224:                              ;   in Loop: Header=BB3_3 Depth=1
	v_bfe_u32 v63, v64, 16, 1
	v_add3_u32 v63, v64, v63, s29
                                        ; implicit-def: $vgpr64
; %bb.225:                              ;   in Loop: Header=BB3_3 Depth=1
	s_andn2_saveexec_b64 s[26:27], s[0:1]
; %bb.226:                              ;   in Loop: Header=BB3_3 Depth=1
	v_or_b32_e32 v63, 0x10000, v64
	v_cmp_eq_u32_sdwa s[0:1], v64, v32 src0_sel:WORD_0 src1_sel:DWORD
	v_cndmask_b32_e64 v63, v63, v64, s[0:1]
; %bb.227:                              ;   in Loop: Header=BB3_3 Depth=1
	s_or_b64 exec, exec, s[26:27]
	v_lshlrev_b32_e32 v64, 16, v65
	v_add_f32_e32 v66, 0xc3080000, v64
	v_and_b32_e32 v64, 0x7f800000, v66
	v_cmp_ne_u32_e64 s[0:1], s6, v64
                                        ; implicit-def: $vgpr64
	s_and_saveexec_b64 s[26:27], s[0:1]
	s_xor_b64 s[0:1], exec, s[26:27]
; %bb.228:                              ;   in Loop: Header=BB3_3 Depth=1
	v_bfe_u32 v64, v66, 16, 1
	v_add3_u32 v64, v66, v64, s29
                                        ; implicit-def: $vgpr66
; %bb.229:                              ;   in Loop: Header=BB3_3 Depth=1
	s_andn2_saveexec_b64 s[26:27], s[0:1]
; %bb.230:                              ;   in Loop: Header=BB3_3 Depth=1
	v_or_b32_e32 v64, 0x10000, v66
	v_cmp_eq_u32_sdwa s[0:1], v66, v32 src0_sel:WORD_0 src1_sel:DWORD
	v_cndmask_b32_e64 v64, v64, v66, s[0:1]
; %bb.231:                              ;   in Loop: Header=BB3_3 Depth=1
	s_or_b64 exec, exec, s[26:27]
	v_and_b32_e32 v65, 0xffff0000, v65
	v_add_f32_e32 v66, 0xc3080000, v65
	v_and_b32_e32 v65, 0x7f800000, v66
	v_cmp_ne_u32_e64 s[0:1], s6, v65
                                        ; implicit-def: $vgpr65
	s_and_saveexec_b64 s[26:27], s[0:1]
	s_xor_b64 s[0:1], exec, s[26:27]
; %bb.232:                              ;   in Loop: Header=BB3_3 Depth=1
	v_bfe_u32 v65, v66, 16, 1
	v_add3_u32 v65, v66, v65, s29
                                        ; implicit-def: $vgpr66
; %bb.233:                              ;   in Loop: Header=BB3_3 Depth=1
	s_andn2_saveexec_b64 s[26:27], s[0:1]
; %bb.234:                              ;   in Loop: Header=BB3_3 Depth=1
	v_or_b32_e32 v65, 0x10000, v66
	v_cmp_eq_u32_sdwa s[0:1], v66, v32 src0_sel:WORD_0 src1_sel:DWORD
	v_cndmask_b32_e64 v65, v65, v66, s[0:1]
; %bb.235:                              ;   in Loop: Header=BB3_3 Depth=1
	s_or_b64 exec, exec, s[26:27]
	v_and_b32_e32 v40, 0xffff0000, v40
	v_fma_f32 v66, v40, v53, v51
	v_and_b32_e32 v40, 0x7f800000, v66
	v_cmp_ne_u32_e64 s[0:1], s6, v40
                                        ; implicit-def: $vgpr40
	s_and_saveexec_b64 s[26:27], s[0:1]
	s_xor_b64 s[0:1], exec, s[26:27]
; %bb.236:                              ;   in Loop: Header=BB3_3 Depth=1
	v_bfe_u32 v40, v66, 16, 1
	v_add3_u32 v40, v66, v40, s29
                                        ; implicit-def: $vgpr66
; %bb.237:                              ;   in Loop: Header=BB3_3 Depth=1
	s_andn2_saveexec_b64 s[26:27], s[0:1]
; %bb.238:                              ;   in Loop: Header=BB3_3 Depth=1
	v_or_b32_e32 v40, 0x10000, v66
	v_cmp_eq_u32_sdwa s[0:1], v66, v32 src0_sel:WORD_0 src1_sel:DWORD
	v_cndmask_b32_e64 v40, v40, v66, s[0:1]
; %bb.239:                              ;   in Loop: Header=BB3_3 Depth=1
	s_or_b64 exec, exec, s[26:27]
	v_and_b32_e32 v59, 0xffff0000, v59
	v_fma_f32 v66, v59, v53, v51
	v_and_b32_e32 v59, 0x7f800000, v66
	v_cmp_ne_u32_e64 s[0:1], s6, v59
                                        ; implicit-def: $vgpr59
	s_and_saveexec_b64 s[26:27], s[0:1]
	s_xor_b64 s[0:1], exec, s[26:27]
; %bb.240:                              ;   in Loop: Header=BB3_3 Depth=1
	v_bfe_u32 v59, v66, 16, 1
	v_add3_u32 v59, v66, v59, s29
                                        ; implicit-def: $vgpr66
; %bb.241:                              ;   in Loop: Header=BB3_3 Depth=1
	s_andn2_saveexec_b64 s[26:27], s[0:1]
; %bb.242:                              ;   in Loop: Header=BB3_3 Depth=1
	v_or_b32_e32 v59, 0x10000, v66
	v_cmp_eq_u32_sdwa s[0:1], v66, v32 src0_sel:WORD_0 src1_sel:DWORD
	v_cndmask_b32_e64 v59, v59, v66, s[0:1]
; %bb.243:                              ;   in Loop: Header=BB3_3 Depth=1
	s_or_b64 exec, exec, s[26:27]
	v_and_b32_e32 v60, 0xffff0000, v60
	v_fma_f32 v66, v60, v53, v51
	v_and_b32_e32 v60, 0x7f800000, v66
	v_cmp_ne_u32_e64 s[0:1], s6, v60
                                        ; implicit-def: $vgpr60
	s_and_saveexec_b64 s[26:27], s[0:1]
	s_xor_b64 s[0:1], exec, s[26:27]
; %bb.244:                              ;   in Loop: Header=BB3_3 Depth=1
	v_bfe_u32 v60, v66, 16, 1
	v_add3_u32 v60, v66, v60, s29
                                        ; implicit-def: $vgpr66
; %bb.245:                              ;   in Loop: Header=BB3_3 Depth=1
	s_andn2_saveexec_b64 s[26:27], s[0:1]
; %bb.246:                              ;   in Loop: Header=BB3_3 Depth=1
	v_or_b32_e32 v60, 0x10000, v66
	v_cmp_eq_u32_sdwa s[0:1], v66, v32 src0_sel:WORD_0 src1_sel:DWORD
	v_cndmask_b32_e64 v60, v60, v66, s[0:1]
; %bb.247:                              ;   in Loop: Header=BB3_3 Depth=1
	s_or_b64 exec, exec, s[26:27]
	v_and_b32_e32 v61, 0xffff0000, v61
	v_fma_f32 v66, v61, v53, v51
	v_and_b32_e32 v61, 0x7f800000, v66
	v_cmp_ne_u32_e64 s[0:1], s6, v61
                                        ; implicit-def: $vgpr61
	s_and_saveexec_b64 s[26:27], s[0:1]
	s_xor_b64 s[0:1], exec, s[26:27]
; %bb.248:                              ;   in Loop: Header=BB3_3 Depth=1
	v_bfe_u32 v61, v66, 16, 1
	v_add3_u32 v61, v66, v61, s29
                                        ; implicit-def: $vgpr66
; %bb.249:                              ;   in Loop: Header=BB3_3 Depth=1
	s_andn2_saveexec_b64 s[26:27], s[0:1]
; %bb.250:                              ;   in Loop: Header=BB3_3 Depth=1
	v_or_b32_e32 v61, 0x10000, v66
	v_cmp_eq_u32_sdwa s[0:1], v66, v32 src0_sel:WORD_0 src1_sel:DWORD
	v_cndmask_b32_e64 v61, v61, v66, s[0:1]
; %bb.251:                              ;   in Loop: Header=BB3_3 Depth=1
	s_or_b64 exec, exec, s[26:27]
	v_and_b32_e32 v62, 0xffff0000, v62
	v_fma_f32 v66, v62, v53, v51
	v_and_b32_e32 v62, 0x7f800000, v66
	v_cmp_ne_u32_e64 s[0:1], s6, v62
                                        ; implicit-def: $vgpr62
	s_and_saveexec_b64 s[26:27], s[0:1]
	s_xor_b64 s[0:1], exec, s[26:27]
; %bb.252:                              ;   in Loop: Header=BB3_3 Depth=1
	v_bfe_u32 v62, v66, 16, 1
	v_add3_u32 v62, v66, v62, s29
                                        ; implicit-def: $vgpr66
; %bb.253:                              ;   in Loop: Header=BB3_3 Depth=1
	s_andn2_saveexec_b64 s[26:27], s[0:1]
; %bb.254:                              ;   in Loop: Header=BB3_3 Depth=1
	v_or_b32_e32 v62, 0x10000, v66
	v_cmp_eq_u32_sdwa s[0:1], v66, v32 src0_sel:WORD_0 src1_sel:DWORD
	v_cndmask_b32_e64 v62, v62, v66, s[0:1]
; %bb.255:                              ;   in Loop: Header=BB3_3 Depth=1
	s_or_b64 exec, exec, s[26:27]
	v_and_b32_e32 v63, 0xffff0000, v63
	v_fma_f32 v66, v63, v53, v51
	v_and_b32_e32 v63, 0x7f800000, v66
	v_cmp_ne_u32_e64 s[0:1], s6, v63
                                        ; implicit-def: $vgpr63
	s_and_saveexec_b64 s[26:27], s[0:1]
	s_xor_b64 s[0:1], exec, s[26:27]
; %bb.256:                              ;   in Loop: Header=BB3_3 Depth=1
	v_bfe_u32 v63, v66, 16, 1
	v_add3_u32 v63, v66, v63, s29
                                        ; implicit-def: $vgpr66
; %bb.257:                              ;   in Loop: Header=BB3_3 Depth=1
	s_andn2_saveexec_b64 s[26:27], s[0:1]
; %bb.258:                              ;   in Loop: Header=BB3_3 Depth=1
	v_or_b32_e32 v63, 0x10000, v66
	v_cmp_eq_u32_sdwa s[0:1], v66, v32 src0_sel:WORD_0 src1_sel:DWORD
	v_cndmask_b32_e64 v63, v63, v66, s[0:1]
; %bb.259:                              ;   in Loop: Header=BB3_3 Depth=1
	s_or_b64 exec, exec, s[26:27]
	v_and_b32_e32 v64, 0xffff0000, v64
	v_fma_f32 v66, v64, v53, v51
	v_and_b32_e32 v64, 0x7f800000, v66
	v_cmp_ne_u32_e64 s[0:1], s6, v64
                                        ; implicit-def: $vgpr64
	s_and_saveexec_b64 s[26:27], s[0:1]
	s_xor_b64 s[0:1], exec, s[26:27]
; %bb.260:                              ;   in Loop: Header=BB3_3 Depth=1
	v_bfe_u32 v64, v66, 16, 1
	v_add3_u32 v64, v66, v64, s29
                                        ; implicit-def: $vgpr66
; %bb.261:                              ;   in Loop: Header=BB3_3 Depth=1
	s_andn2_saveexec_b64 s[26:27], s[0:1]
; %bb.262:                              ;   in Loop: Header=BB3_3 Depth=1
	v_or_b32_e32 v64, 0x10000, v66
	v_cmp_eq_u32_sdwa s[0:1], v66, v32 src0_sel:WORD_0 src1_sel:DWORD
	v_cndmask_b32_e64 v64, v64, v66, s[0:1]
; %bb.263:                              ;   in Loop: Header=BB3_3 Depth=1
	s_or_b64 exec, exec, s[26:27]
	v_and_b32_e32 v65, 0xffff0000, v65
	v_fmac_f32_e32 v51, v65, v53
	v_and_b32_e32 v53, 0x7f800000, v51
	v_cmp_ne_u32_e64 s[0:1], s6, v53
                                        ; implicit-def: $vgpr53
	s_and_saveexec_b64 s[26:27], s[0:1]
	s_xor_b64 s[0:1], exec, s[26:27]
; %bb.264:                              ;   in Loop: Header=BB3_3 Depth=1
	v_bfe_u32 v53, v51, 16, 1
	v_add3_u32 v53, v51, v53, s29
                                        ; implicit-def: $vgpr51
; %bb.265:                              ;   in Loop: Header=BB3_3 Depth=1
	s_andn2_saveexec_b64 s[26:27], s[0:1]
	s_cbranch_execz .LBB3_2
; %bb.266:                              ;   in Loop: Header=BB3_3 Depth=1
	v_or_b32_e32 v53, 0x10000, v51
	v_cmp_eq_u32_sdwa s[0:1], v51, v32 src0_sel:WORD_0 src1_sel:DWORD
	v_cndmask_b32_e64 v53, v53, v51, s[0:1]
	s_branch .LBB3_2
.LBB3_267:
	s_or_b64 exec, exec, s[10:11]
.LBB3_268:
	s_or_b64 exec, exec, s[4:5]
	v_lshl_add_u32 v8, v24, 1, s9
	v_cmp_gt_u32_e32 vcc, s3, v8
	s_and_saveexec_b64 s[0:1], vcc
	s_cbranch_execz .LBB3_336
; %bb.269:
	v_lshl_or_b32 v9, s8, 4, v25
	v_cmp_gt_i32_e32 vcc, s16, v9
	v_mov_b32_e32 v6, 0
	v_mov_b32_e32 v7, 0
	;; [unrolled: 1-line block ×4, first 2 shown]
	s_and_saveexec_b64 s[4:5], vcc
	s_cbranch_execz .LBB3_271
; %bb.270:
	v_mul_lo_u32 v4, v9, s18
	v_ashrrev_i32_e32 v5, 31, v4
	v_lshlrev_b64 v[4:5], 1, v[4:5]
	v_add_co_u32_e32 v7, vcc, s20, v4
	v_and_b32_e32 v4, 0xfc, v27
	v_mov_b32_e32 v6, s21
	v_lshl_add_u32 v4, v8, 4, v4
	v_addc_co_u32_e32 v6, vcc, v6, v5, vcc
	v_ashrrev_i32_e32 v5, 31, v4
	v_lshlrev_b64 v[4:5], 1, v[4:5]
	v_add_co_u32_e32 v10, vcc, v7, v4
	v_addc_co_u32_e32 v11, vcc, v6, v5, vcc
	global_load_dwordx2 v[6:7], v[10:11], off
	global_load_dwordx2 v[4:5], v[10:11], off offset:32
.LBB3_271:
	s_or_b64 exec, exec, s[4:5]
	s_lshr_b32 s4, s3, 31
	s_add_i32 s3, s3, s4
	s_lshr_b32 s3, s3, 1
	s_mul_i32 s3, s3, s7
	v_lshrrev_b32_e32 v9, 1, v8
	v_add_u32_e32 v9, s3, v9
	v_lshl_add_u32 v10, v9, 6, v26
	v_ashrrev_i32_e32 v11, 31, v10
	v_lshlrev_b64 v[10:11], 2, v[10:11]
	v_mov_b32_e32 v9, s23
	v_add_co_u32_e32 v10, vcc, s22, v10
	v_addc_co_u32_e32 v11, vcc, v9, v11, vcc
	global_load_dword v11, v[10:11], off
	v_ashrrev_i32_e32 v10, 31, v8
	v_lshrrev_b32_e32 v10, 30, v10
	v_add_u32_e32 v8, v8, v10
	v_lshrrev_b32_e32 v8, 2, v8
	v_mul_lo_u32 v8, s2, v8
	v_lshl_or_b32 v9, s7, 4, v25
	v_lshlrev_b32_e32 v8, 4, v8
	v_add_lshl_u32 v8, v9, v8, 1
	v_ashrrev_i32_e32 v9, 31, v8
	v_lshlrev_b64 v[8:9], 1, v[8:9]
	v_mov_b32_e32 v10, s13
	v_add_co_u32_e32 v8, vcc, s12, v8
	v_addc_co_u32_e32 v9, vcc, v10, v9, vcc
	global_load_dword v8, v[8:9], off
	v_mov_b32_e32 v9, 0xf000f
	v_mov_b32_e32 v13, 0x43004300
	s_waitcnt vmcnt(1)
	;;#ASMSTART
	v_and_or_b32 v10, v11, v9, v13
	;;#ASMEND
	s_mov_b32 s2, 0x7f800000
	v_lshrrev_b32_e32 v12, 4, v11
	v_lshrrev_b32_e32 v14, 8, v11
	;; [unrolled: 1-line block ×3, first 2 shown]
	;;#ASMSTART
	v_and_or_b32 v12, v12, v9, v13
	;;#ASMEND
	;;#ASMSTART
	v_and_or_b32 v14, v14, v9, v13
	;;#ASMEND
	;; [unrolled: 3-line block ×3, first 2 shown]
	v_lshlrev_b32_e32 v9, 16, v10
	v_add_f32_e32 v11, 0xc3080000, v9
	v_and_b32_e32 v9, 0x7f800000, v11
	v_cmp_ne_u32_e32 vcc, s2, v9
                                        ; implicit-def: $vgpr9
	s_and_saveexec_b64 s[2:3], vcc
	s_xor_b64 s[2:3], exec, s[2:3]
; %bb.272:
	v_bfe_u32 v9, v11, 16, 1
	s_movk_i32 s4, 0x7fff
	v_add3_u32 v9, v11, v9, s4
                                        ; implicit-def: $vgpr11
; %bb.273:
	s_andn2_saveexec_b64 s[2:3], s[2:3]
; %bb.274:
	v_mov_b32_e32 v9, 0
	v_or_b32_e32 v13, 0x10000, v11
	v_cmp_eq_u32_sdwa vcc, v11, v9 src0_sel:WORD_0 src1_sel:DWORD
	v_cndmask_b32_e32 v9, v13, v11, vcc
; %bb.275:
	s_or_b64 exec, exec, s[2:3]
	v_and_b32_e32 v10, 0xffff0000, v10
	v_add_f32_e32 v11, 0xc3080000, v10
	s_mov_b32 s2, 0x7f800000
	v_and_b32_e32 v10, 0x7f800000, v11
	v_cmp_ne_u32_e32 vcc, s2, v10
                                        ; implicit-def: $vgpr10
	s_and_saveexec_b64 s[2:3], vcc
	s_xor_b64 s[2:3], exec, s[2:3]
; %bb.276:
	v_bfe_u32 v10, v11, 16, 1
	s_movk_i32 s4, 0x7fff
	v_add3_u32 v10, v11, v10, s4
                                        ; implicit-def: $vgpr11
; %bb.277:
	s_andn2_saveexec_b64 s[2:3], s[2:3]
; %bb.278:
	v_mov_b32_e32 v10, 0
	v_or_b32_e32 v13, 0x10000, v11
	v_cmp_eq_u32_sdwa vcc, v11, v10 src0_sel:WORD_0 src1_sel:DWORD
	v_cndmask_b32_e32 v10, v13, v11, vcc
; %bb.279:
	s_or_b64 exec, exec, s[2:3]
	v_lshlrev_b32_e32 v11, 16, v12
	v_add_f32_e32 v13, 0xc3080000, v11
	s_mov_b32 s2, 0x7f800000
	v_and_b32_e32 v11, 0x7f800000, v13
	v_cmp_ne_u32_e32 vcc, s2, v11
                                        ; implicit-def: $vgpr11
	s_and_saveexec_b64 s[2:3], vcc
	s_xor_b64 s[2:3], exec, s[2:3]
; %bb.280:
	v_bfe_u32 v11, v13, 16, 1
	s_movk_i32 s4, 0x7fff
	v_add3_u32 v11, v13, v11, s4
                                        ; implicit-def: $vgpr13
; %bb.281:
	s_andn2_saveexec_b64 s[2:3], s[2:3]
; %bb.282:
	v_mov_b32_e32 v11, 0
	v_or_b32_e32 v15, 0x10000, v13
	v_cmp_eq_u32_sdwa vcc, v13, v11 src0_sel:WORD_0 src1_sel:DWORD
	v_cndmask_b32_e32 v11, v15, v13, vcc
; %bb.283:
	s_or_b64 exec, exec, s[2:3]
	v_and_b32_e32 v12, 0xffff0000, v12
	v_add_f32_e32 v13, 0xc3080000, v12
	s_mov_b32 s2, 0x7f800000
	v_and_b32_e32 v12, 0x7f800000, v13
	v_cmp_ne_u32_e32 vcc, s2, v12
                                        ; implicit-def: $vgpr12
	s_and_saveexec_b64 s[2:3], vcc
	s_xor_b64 s[2:3], exec, s[2:3]
; %bb.284:
	v_bfe_u32 v12, v13, 16, 1
	s_movk_i32 s4, 0x7fff
	v_add3_u32 v12, v13, v12, s4
                                        ; implicit-def: $vgpr13
; %bb.285:
	s_andn2_saveexec_b64 s[2:3], s[2:3]
; %bb.286:
	v_mov_b32_e32 v12, 0
	v_or_b32_e32 v15, 0x10000, v13
	v_cmp_eq_u32_sdwa vcc, v13, v12 src0_sel:WORD_0 src1_sel:DWORD
	v_cndmask_b32_e32 v12, v15, v13, vcc
; %bb.287:
	s_or_b64 exec, exec, s[2:3]
	v_lshlrev_b32_e32 v13, 16, v14
	v_add_f32_e32 v15, 0xc3080000, v13
	s_mov_b32 s2, 0x7f800000
	v_and_b32_e32 v13, 0x7f800000, v15
	v_cmp_ne_u32_e32 vcc, s2, v13
                                        ; implicit-def: $vgpr13
	s_and_saveexec_b64 s[2:3], vcc
	s_xor_b64 s[2:3], exec, s[2:3]
; %bb.288:
	v_bfe_u32 v13, v15, 16, 1
	s_movk_i32 s4, 0x7fff
	v_add3_u32 v13, v15, v13, s4
                                        ; implicit-def: $vgpr15
; %bb.289:
	s_andn2_saveexec_b64 s[2:3], s[2:3]
; %bb.290:
	v_mov_b32_e32 v13, 0
	v_or_b32_e32 v17, 0x10000, v15
	v_cmp_eq_u32_sdwa vcc, v15, v13 src0_sel:WORD_0 src1_sel:DWORD
	v_cndmask_b32_e32 v13, v17, v15, vcc
; %bb.291:
	s_or_b64 exec, exec, s[2:3]
	v_and_b32_e32 v14, 0xffff0000, v14
	v_add_f32_e32 v15, 0xc3080000, v14
	s_mov_b32 s2, 0x7f800000
	v_and_b32_e32 v14, 0x7f800000, v15
	v_cmp_ne_u32_e32 vcc, s2, v14
                                        ; implicit-def: $vgpr14
	s_and_saveexec_b64 s[2:3], vcc
	s_xor_b64 s[2:3], exec, s[2:3]
; %bb.292:
	v_bfe_u32 v14, v15, 16, 1
	s_movk_i32 s4, 0x7fff
	v_add3_u32 v14, v15, v14, s4
                                        ; implicit-def: $vgpr15
; %bb.293:
	s_andn2_saveexec_b64 s[2:3], s[2:3]
; %bb.294:
	v_mov_b32_e32 v14, 0
	v_or_b32_e32 v17, 0x10000, v15
	v_cmp_eq_u32_sdwa vcc, v15, v14 src0_sel:WORD_0 src1_sel:DWORD
	v_cndmask_b32_e32 v14, v17, v15, vcc
; %bb.295:
	s_or_b64 exec, exec, s[2:3]
	v_lshlrev_b32_e32 v15, 16, v16
	v_add_f32_e32 v17, 0xc3080000, v15
	s_mov_b32 s2, 0x7f800000
	v_and_b32_e32 v15, 0x7f800000, v17
	v_cmp_ne_u32_e32 vcc, s2, v15
                                        ; implicit-def: $vgpr15
	s_and_saveexec_b64 s[2:3], vcc
	s_xor_b64 s[2:3], exec, s[2:3]
; %bb.296:
	v_bfe_u32 v15, v17, 16, 1
	s_movk_i32 s4, 0x7fff
	v_add3_u32 v15, v17, v15, s4
                                        ; implicit-def: $vgpr17
; %bb.297:
	s_andn2_saveexec_b64 s[2:3], s[2:3]
; %bb.298:
	v_mov_b32_e32 v15, 0
	v_or_b32_e32 v18, 0x10000, v17
	v_cmp_eq_u32_sdwa vcc, v17, v15 src0_sel:WORD_0 src1_sel:DWORD
	v_cndmask_b32_e32 v15, v18, v17, vcc
; %bb.299:
	s_or_b64 exec, exec, s[2:3]
	v_and_b32_e32 v16, 0xffff0000, v16
	v_add_f32_e32 v17, 0xc3080000, v16
	s_mov_b32 s2, 0x7f800000
	v_and_b32_e32 v16, 0x7f800000, v17
	v_cmp_ne_u32_e32 vcc, s2, v16
                                        ; implicit-def: $vgpr16
	s_and_saveexec_b64 s[2:3], vcc
	s_xor_b64 s[2:3], exec, s[2:3]
; %bb.300:
	v_bfe_u32 v16, v17, 16, 1
	s_movk_i32 s4, 0x7fff
	v_add3_u32 v16, v17, v16, s4
                                        ; implicit-def: $vgpr17
; %bb.301:
	s_andn2_saveexec_b64 s[2:3], s[2:3]
; %bb.302:
	v_mov_b32_e32 v16, 0
	v_or_b32_e32 v18, 0x10000, v17
	v_cmp_eq_u32_sdwa vcc, v17, v16 src0_sel:WORD_0 src1_sel:DWORD
	v_cndmask_b32_e32 v16, v18, v17, vcc
; %bb.303:
	s_or_b64 exec, exec, s[2:3]
	v_and_b32_e32 v9, 0xffff0000, v9
	s_waitcnt vmcnt(0)
	v_lshlrev_b32_e32 v17, 16, v8
	v_and_b32_e32 v8, 0xffff0000, v8
	v_fma_f32 v18, v9, v17, v8
	s_mov_b32 s2, 0x7f800000
	v_and_b32_e32 v9, 0x7f800000, v18
	v_cmp_ne_u32_e32 vcc, s2, v9
                                        ; implicit-def: $vgpr9
	s_and_saveexec_b64 s[2:3], vcc
	s_xor_b64 s[2:3], exec, s[2:3]
; %bb.304:
	v_bfe_u32 v9, v18, 16, 1
	s_movk_i32 s4, 0x7fff
	v_add3_u32 v9, v18, v9, s4
                                        ; implicit-def: $vgpr18
; %bb.305:
	s_andn2_saveexec_b64 s[2:3], s[2:3]
; %bb.306:
	v_mov_b32_e32 v9, 0
	v_or_b32_e32 v19, 0x10000, v18
	v_cmp_eq_u32_sdwa vcc, v18, v9 src0_sel:WORD_0 src1_sel:DWORD
	v_cndmask_b32_e32 v9, v19, v18, vcc
; %bb.307:
	s_or_b64 exec, exec, s[2:3]
	v_and_b32_e32 v10, 0xffff0000, v10
	v_fma_f32 v18, v10, v17, v8
	s_mov_b32 s2, 0x7f800000
	v_and_b32_e32 v10, 0x7f800000, v18
	v_cmp_ne_u32_e32 vcc, s2, v10
                                        ; implicit-def: $vgpr10
	s_and_saveexec_b64 s[2:3], vcc
	s_xor_b64 s[2:3], exec, s[2:3]
; %bb.308:
	v_bfe_u32 v10, v18, 16, 1
	s_movk_i32 s4, 0x7fff
	v_add3_u32 v10, v18, v10, s4
                                        ; implicit-def: $vgpr18
; %bb.309:
	s_andn2_saveexec_b64 s[2:3], s[2:3]
; %bb.310:
	v_mov_b32_e32 v10, 0
	v_or_b32_e32 v19, 0x10000, v18
	v_cmp_eq_u32_sdwa vcc, v18, v10 src0_sel:WORD_0 src1_sel:DWORD
	v_cndmask_b32_e32 v10, v19, v18, vcc
; %bb.311:
	s_or_b64 exec, exec, s[2:3]
	v_and_b32_e32 v11, 0xffff0000, v11
	v_fma_f32 v18, v11, v17, v8
	s_mov_b32 s2, 0x7f800000
	v_and_b32_e32 v11, 0x7f800000, v18
	v_cmp_ne_u32_e32 vcc, s2, v11
                                        ; implicit-def: $vgpr11
	s_and_saveexec_b64 s[2:3], vcc
	s_xor_b64 s[2:3], exec, s[2:3]
; %bb.312:
	v_bfe_u32 v11, v18, 16, 1
	s_movk_i32 s4, 0x7fff
	v_add3_u32 v11, v18, v11, s4
                                        ; implicit-def: $vgpr18
; %bb.313:
	s_andn2_saveexec_b64 s[2:3], s[2:3]
; %bb.314:
	v_mov_b32_e32 v11, 0
	v_or_b32_e32 v19, 0x10000, v18
	v_cmp_eq_u32_sdwa vcc, v18, v11 src0_sel:WORD_0 src1_sel:DWORD
	v_cndmask_b32_e32 v11, v19, v18, vcc
; %bb.315:
	s_or_b64 exec, exec, s[2:3]
	v_and_b32_e32 v12, 0xffff0000, v12
	v_fma_f32 v18, v12, v17, v8
	s_mov_b32 s2, 0x7f800000
	v_and_b32_e32 v12, 0x7f800000, v18
	v_cmp_ne_u32_e32 vcc, s2, v12
                                        ; implicit-def: $vgpr12
	s_and_saveexec_b64 s[2:3], vcc
	s_xor_b64 s[2:3], exec, s[2:3]
; %bb.316:
	v_bfe_u32 v12, v18, 16, 1
	s_movk_i32 s4, 0x7fff
	v_add3_u32 v12, v18, v12, s4
                                        ; implicit-def: $vgpr18
; %bb.317:
	s_andn2_saveexec_b64 s[2:3], s[2:3]
; %bb.318:
	v_mov_b32_e32 v12, 0
	v_or_b32_e32 v19, 0x10000, v18
	v_cmp_eq_u32_sdwa vcc, v18, v12 src0_sel:WORD_0 src1_sel:DWORD
	v_cndmask_b32_e32 v12, v19, v18, vcc
; %bb.319:
	s_or_b64 exec, exec, s[2:3]
	v_and_b32_e32 v13, 0xffff0000, v13
	v_fma_f32 v18, v13, v17, v8
	s_mov_b32 s2, 0x7f800000
	v_and_b32_e32 v13, 0x7f800000, v18
	v_cmp_ne_u32_e32 vcc, s2, v13
                                        ; implicit-def: $vgpr13
	s_and_saveexec_b64 s[2:3], vcc
	s_xor_b64 s[2:3], exec, s[2:3]
; %bb.320:
	v_bfe_u32 v13, v18, 16, 1
	s_movk_i32 s4, 0x7fff
	v_add3_u32 v13, v18, v13, s4
                                        ; implicit-def: $vgpr18
; %bb.321:
	s_andn2_saveexec_b64 s[2:3], s[2:3]
; %bb.322:
	v_mov_b32_e32 v13, 0
	v_or_b32_e32 v19, 0x10000, v18
	v_cmp_eq_u32_sdwa vcc, v18, v13 src0_sel:WORD_0 src1_sel:DWORD
	v_cndmask_b32_e32 v13, v19, v18, vcc
; %bb.323:
	s_or_b64 exec, exec, s[2:3]
	v_and_b32_e32 v14, 0xffff0000, v14
	v_fma_f32 v18, v14, v17, v8
	s_mov_b32 s2, 0x7f800000
	v_and_b32_e32 v14, 0x7f800000, v18
	v_cmp_ne_u32_e32 vcc, s2, v14
                                        ; implicit-def: $vgpr14
	s_and_saveexec_b64 s[2:3], vcc
	s_xor_b64 s[2:3], exec, s[2:3]
; %bb.324:
	v_bfe_u32 v14, v18, 16, 1
	s_movk_i32 s4, 0x7fff
	v_add3_u32 v14, v18, v14, s4
                                        ; implicit-def: $vgpr18
; %bb.325:
	s_andn2_saveexec_b64 s[2:3], s[2:3]
; %bb.326:
	v_mov_b32_e32 v14, 0
	v_or_b32_e32 v19, 0x10000, v18
	v_cmp_eq_u32_sdwa vcc, v18, v14 src0_sel:WORD_0 src1_sel:DWORD
	v_cndmask_b32_e32 v14, v19, v18, vcc
; %bb.327:
	s_or_b64 exec, exec, s[2:3]
	v_and_b32_e32 v15, 0xffff0000, v15
	v_fma_f32 v18, v15, v17, v8
	s_mov_b32 s2, 0x7f800000
	v_and_b32_e32 v15, 0x7f800000, v18
	v_cmp_ne_u32_e32 vcc, s2, v15
                                        ; implicit-def: $vgpr15
	s_and_saveexec_b64 s[2:3], vcc
	s_xor_b64 s[2:3], exec, s[2:3]
; %bb.328:
	v_bfe_u32 v15, v18, 16, 1
	s_movk_i32 s4, 0x7fff
	v_add3_u32 v15, v18, v15, s4
                                        ; implicit-def: $vgpr18
; %bb.329:
	s_andn2_saveexec_b64 s[2:3], s[2:3]
; %bb.330:
	v_mov_b32_e32 v15, 0
	v_or_b32_e32 v19, 0x10000, v18
	v_cmp_eq_u32_sdwa vcc, v18, v15 src0_sel:WORD_0 src1_sel:DWORD
	v_cndmask_b32_e32 v15, v19, v18, vcc
; %bb.331:
	s_or_b64 exec, exec, s[2:3]
	v_and_b32_e32 v16, 0xffff0000, v16
	v_fmac_f32_e32 v8, v16, v17
	s_mov_b32 s2, 0x7f800000
	v_and_b32_e32 v16, 0x7f800000, v8
	v_cmp_ne_u32_e32 vcc, s2, v16
                                        ; implicit-def: $vgpr16
	s_and_saveexec_b64 s[2:3], vcc
	s_xor_b64 s[2:3], exec, s[2:3]
; %bb.332:
	v_bfe_u32 v16, v8, 16, 1
	s_movk_i32 s4, 0x7fff
	v_add3_u32 v16, v8, v16, s4
                                        ; implicit-def: $vgpr8
; %bb.333:
	s_andn2_saveexec_b64 s[2:3], s[2:3]
; %bb.334:
	v_mov_b32_e32 v16, 0
	v_or_b32_e32 v17, 0x10000, v8
	v_cmp_eq_u32_sdwa vcc, v8, v16 src0_sel:WORD_0 src1_sel:DWORD
	v_cndmask_b32_e32 v16, v17, v8, vcc
; %bb.335:
	s_or_b64 exec, exec, s[2:3]
	s_mov_b32 s2, 0x3020706
	v_perm_b32 v11, v11, v12, s2
	v_perm_b32 v10, v9, v10, s2
	s_nop 1
	v_mfma_f32_16x16x16bf16_1k v[6:9], v[6:7], v[10:11], 0
	v_perm_b32 v11, v15, v16, s2
	v_perm_b32 v10, v13, v14, s2
	s_nop 7
	s_nop 0
	v_pk_add_f32 v[8:9], v[2:3], v[8:9]
	v_pk_add_f32 v[6:7], v[0:1], v[6:7]
	v_mfma_f32_16x16x16bf16_1k v[0:3], v[4:5], v[10:11], 0
	s_nop 7
	s_nop 2
	v_pk_add_f32 v[2:3], v[8:9], v[2:3]
	v_pk_add_f32 v[0:1], v[6:7], v[0:1]
.LBB3_336:
	s_or_b64 exec, exec, s[0:1]
	v_lshlrev_b32_e32 v28, 4, v26
	v_lshl_add_u32 v4, v24, 10, v28
	v_cmp_eq_u32_e32 vcc, 0, v24
	ds_write_b128 v4, v[0:3]
	s_waitcnt lgkmcnt(0)
	s_barrier
	s_and_saveexec_b64 s[0:1], vcc
	s_cbranch_execz .LBB3_361
; %bb.337:
	v_add_u32_e32 v0, 12, v28
	v_add_u32_e32 v1, 0x404, v28
	;; [unrolled: 1-line block ×4, first 2 shown]
	ds_read2st64_b32 v[2:3], v0 offset1:4
	ds_read2st64_b32 v[4:5], v0 offset0:8 offset1:12
	ds_read2_b32 v[10:11], v28 offset0:1 offset1:2
	ds_read2_b32 v[12:13], v1 offset1:1
	ds_read2_b32 v[14:15], v6 offset1:1
	;; [unrolled: 1-line block ×3, first 2 shown]
	v_add_u32_e32 v1, 0x1004, v28
	ds_read2st64_b32 v[6:7], v0 offset0:16 offset1:20
	v_add_u32_e32 v20, 0x1404, v28
	v_add_u32_e32 v22, 0x1804, v28
	ds_read2st64_b32 v[8:9], v0 offset0:24 offset1:28
	v_add_u32_e32 v0, 0x1c04, v28
	ds_read2_b32 v[18:19], v1 offset1:1
	ds_read2_b32 v[20:21], v20 offset1:1
	ds_read2_b32 v[22:23], v22 offset1:1
	ds_read2_b32 v[24:25], v0 offset1:1
	v_and_b32_e32 v0, 0xfc, v27
	v_lshl_add_u32 v27, s8, 4, v0
	v_mul_lo_u32 v30, v27, s17
	v_ashrrev_i32_e32 v31, 31, v30
	s_lshl_b32 s0, s7, 4
	v_lshlrev_b64 v[30:31], 1, v[30:31]
	v_and_or_b32 v0, v26, 15, s0
	v_mov_b32_e32 v1, s15
	v_add_co_u32_e32 v26, vcc, s14, v30
	v_addc_co_u32_e32 v29, vcc, v1, v31, vcc
	v_ashrrev_i32_e32 v1, 31, v0
	v_lshlrev_b64 v[0:1], 1, v[0:1]
	v_add_co_u32_e32 v0, vcc, v26, v0
	v_addc_co_u32_e32 v1, vcc, v29, v1, vcc
	v_cmp_gt_i32_e32 vcc, s16, v27
	s_and_saveexec_b64 s[0:1], vcc
	s_cbranch_execz .LBB3_343
; %bb.338:
	ds_read2st64_b32 v[30:31], v28 offset1:4
	ds_read2st64_b32 v[32:33], v28 offset0:8 offset1:12
	ds_read2st64_b32 v[34:35], v28 offset0:16 offset1:20
	;; [unrolled: 1-line block ×3, first 2 shown]
	s_mov_b32 s2, 0x7f800000
	s_waitcnt lgkmcnt(3)
	v_add_f32_e32 v26, 0, v30
	v_add_f32_e32 v26, v26, v31
	s_waitcnt lgkmcnt(2)
	v_add_f32_e32 v26, v26, v32
	v_add_f32_e32 v26, v26, v33
	;; [unrolled: 3-line block ×4, first 2 shown]
	v_and_b32_e32 v28, 0x7f800000, v26
	v_cmp_ne_u32_e32 vcc, s2, v28
                                        ; implicit-def: $vgpr28
	s_and_saveexec_b64 s[2:3], vcc
	s_xor_b64 s[2:3], exec, s[2:3]
; %bb.339:
	v_bfe_u32 v28, v26, 16, 1
	s_movk_i32 s4, 0x7fff
	v_add3_u32 v28, v26, v28, s4
                                        ; implicit-def: $vgpr26
; %bb.340:
	s_andn2_saveexec_b64 s[2:3], s[2:3]
; %bb.341:
	v_mov_b32_e32 v28, 0
	v_or_b32_e32 v29, 0x10000, v26
	v_cmp_eq_u32_sdwa vcc, v26, v28 src0_sel:WORD_0 src1_sel:DWORD
	v_cndmask_b32_e32 v28, v29, v26, vcc
; %bb.342:
	s_or_b64 exec, exec, s[2:3]
	global_store_short_d16_hi v[0:1], v28, off
.LBB3_343:
	s_or_b64 exec, exec, s[0:1]
	v_or_b32_e32 v26, 1, v27
	v_cmp_gt_i32_e32 vcc, s16, v26
	s_and_saveexec_b64 s[0:1], vcc
	s_cbranch_execz .LBB3_349
; %bb.344:
	s_waitcnt lgkmcnt(9)
	v_add_f32_e32 v10, 0, v10
	s_waitcnt lgkmcnt(8)
	v_add_f32_e32 v10, v10, v12
	;; [unrolled: 2-line block ×8, first 2 shown]
	s_mov_b32 s2, 0x7f800000
	v_and_b32_e32 v10, 0x7f800000, v12
	v_cmp_ne_u32_e32 vcc, s2, v10
                                        ; implicit-def: $vgpr10
	s_and_saveexec_b64 s[2:3], vcc
	s_xor_b64 s[2:3], exec, s[2:3]
; %bb.345:
	v_bfe_u32 v10, v12, 16, 1
	s_movk_i32 s4, 0x7fff
	v_add3_u32 v10, v12, v10, s4
                                        ; implicit-def: $vgpr12
; %bb.346:
	s_andn2_saveexec_b64 s[2:3], s[2:3]
; %bb.347:
	v_mov_b32_e32 v10, 0
	v_or_b32_e32 v14, 0x10000, v12
	v_cmp_eq_u32_sdwa vcc, v12, v10 src0_sel:WORD_0 src1_sel:DWORD
	v_cndmask_b32_e32 v10, v14, v12, vcc
; %bb.348:
	s_or_b64 exec, exec, s[2:3]
	s_ashr_i32 s3, s17, 31
	s_mov_b32 s2, s17
	s_lshl_b64 s[2:3], s[2:3], 1
	v_mov_b32_e32 v12, s3
	v_add_co_u32_e32 v28, vcc, s2, v0
	v_addc_co_u32_e32 v29, vcc, v1, v12, vcc
	global_store_short_d16_hi v[28:29], v10, off
.LBB3_349:
	s_or_b64 exec, exec, s[0:1]
	s_waitcnt lgkmcnt(9)
	v_or_b32_e32 v10, 2, v27
	v_cmp_gt_i32_e32 vcc, s16, v10
	s_and_saveexec_b64 s[0:1], vcc
	s_cbranch_execz .LBB3_355
; %bb.350:
	v_add_f32_e32 v10, 0, v11
	s_waitcnt lgkmcnt(8)
	v_add_f32_e32 v10, v10, v13
	s_waitcnt lgkmcnt(7)
	;; [unrolled: 2-line block ×7, first 2 shown]
	v_add_f32_e32 v11, v10, v25
	s_mov_b32 s2, 0x7f800000
	v_and_b32_e32 v10, 0x7f800000, v11
	v_cmp_ne_u32_e32 vcc, s2, v10
                                        ; implicit-def: $vgpr10
	s_and_saveexec_b64 s[2:3], vcc
	s_xor_b64 s[2:3], exec, s[2:3]
; %bb.351:
	v_bfe_u32 v10, v11, 16, 1
	s_movk_i32 s4, 0x7fff
	v_add3_u32 v10, v11, v10, s4
                                        ; implicit-def: $vgpr11
; %bb.352:
	s_andn2_saveexec_b64 s[2:3], s[2:3]
; %bb.353:
	v_mov_b32_e32 v10, 0
	v_or_b32_e32 v12, 0x10000, v11
	v_cmp_eq_u32_sdwa vcc, v11, v10 src0_sel:WORD_0 src1_sel:DWORD
	v_cndmask_b32_e32 v10, v12, v11, vcc
; %bb.354:
	s_or_b64 exec, exec, s[2:3]
	s_lshl_b32 s2, s17, 1
	s_ashr_i32 s3, s2, 31
	s_lshl_b64 s[2:3], s[2:3], 1
	v_mov_b32_e32 v11, s3
	v_add_co_u32_e32 v12, vcc, s2, v0
	v_addc_co_u32_e32 v13, vcc, v1, v11, vcc
	global_store_short_d16_hi v[12:13], v10, off
.LBB3_355:
	s_or_b64 exec, exec, s[0:1]
	v_or_b32_e32 v10, 3, v27
	v_cmp_gt_i32_e32 vcc, s16, v10
	s_and_b64 exec, exec, vcc
	s_cbranch_execz .LBB3_361
; %bb.356:
	v_add_f32_e32 v2, 0, v2
	v_add_f32_e32 v2, v2, v3
	;; [unrolled: 1-line block ×4, first 2 shown]
	s_waitcnt lgkmcnt(5)
	v_add_f32_e32 v2, v2, v6
	v_add_f32_e32 v2, v2, v7
	s_waitcnt lgkmcnt(4)
	v_add_f32_e32 v2, v2, v8
	v_add_f32_e32 v3, v2, v9
	s_mov_b32 s0, 0x7f800000
	v_and_b32_e32 v2, 0x7f800000, v3
	v_cmp_ne_u32_e32 vcc, s0, v2
                                        ; implicit-def: $vgpr2
	s_and_saveexec_b64 s[0:1], vcc
	s_xor_b64 s[0:1], exec, s[0:1]
; %bb.357:
	v_bfe_u32 v2, v3, 16, 1
	s_movk_i32 s2, 0x7fff
	v_add3_u32 v2, v3, v2, s2
                                        ; implicit-def: $vgpr3
; %bb.358:
	s_andn2_saveexec_b64 s[0:1], s[0:1]
; %bb.359:
	v_mov_b32_e32 v2, 0
	v_or_b32_e32 v4, 0x10000, v3
	v_cmp_eq_u32_sdwa vcc, v3, v2 src0_sel:WORD_0 src1_sel:DWORD
	v_cndmask_b32_e32 v2, v4, v3, vcc
; %bb.360:
	s_or_b64 exec, exec, s[0:1]
	s_mul_i32 s0, s17, 3
	s_ashr_i32 s1, s0, 31
	s_lshl_b64 s[0:1], s[0:1], 1
	v_mov_b32_e32 v3, s1
	v_add_co_u32_e32 v0, vcc, s0, v0
	v_addc_co_u32_e32 v1, vcc, v1, v3, vcc
	global_store_short_d16_hi v[0:1], v2, off
.LBB3_361:
	s_endpgm
	.section	.rodata,"a",@progbits
	.p2align	6, 0x0
	.amdhsa_kernel _ZN2at6native30tinygemm_m16n8k16_chunk_kernelINS0_10ALayout_RMILNS0_14KReductionTypeE0EEENS0_15BLayout_TC_int4ILi2ELi64EEES4_Li8ELi8EEEvPKvS8_S8_Pviiiiii
		.amdhsa_group_segment_fixed_size 8192
		.amdhsa_private_segment_fixed_size 0
		.amdhsa_kernarg_size 56
		.amdhsa_user_sgpr_count 6
		.amdhsa_user_sgpr_private_segment_buffer 1
		.amdhsa_user_sgpr_dispatch_ptr 0
		.amdhsa_user_sgpr_queue_ptr 0
		.amdhsa_user_sgpr_kernarg_segment_ptr 1
		.amdhsa_user_sgpr_dispatch_id 0
		.amdhsa_user_sgpr_flat_scratch_init 0
		.amdhsa_user_sgpr_kernarg_preload_length 0
		.amdhsa_user_sgpr_kernarg_preload_offset 0
		.amdhsa_user_sgpr_private_segment_size 0
		.amdhsa_uses_dynamic_stack 0
		.amdhsa_system_sgpr_private_segment_wavefront_offset 0
		.amdhsa_system_sgpr_workgroup_id_x 1
		.amdhsa_system_sgpr_workgroup_id_y 1
		.amdhsa_system_sgpr_workgroup_id_z 1
		.amdhsa_system_sgpr_workgroup_info 0
		.amdhsa_system_vgpr_workitem_id 1
		.amdhsa_next_free_vgpr 70
		.amdhsa_next_free_sgpr 31
		.amdhsa_accum_offset 72
		.amdhsa_reserve_vcc 1
		.amdhsa_reserve_flat_scratch 0
		.amdhsa_float_round_mode_32 0
		.amdhsa_float_round_mode_16_64 0
		.amdhsa_float_denorm_mode_32 3
		.amdhsa_float_denorm_mode_16_64 3
		.amdhsa_dx10_clamp 1
		.amdhsa_ieee_mode 1
		.amdhsa_fp16_overflow 0
		.amdhsa_tg_split 0
		.amdhsa_exception_fp_ieee_invalid_op 0
		.amdhsa_exception_fp_denorm_src 0
		.amdhsa_exception_fp_ieee_div_zero 0
		.amdhsa_exception_fp_ieee_overflow 0
		.amdhsa_exception_fp_ieee_underflow 0
		.amdhsa_exception_fp_ieee_inexact 0
		.amdhsa_exception_int_div_zero 0
	.end_amdhsa_kernel
	.section	.text._ZN2at6native30tinygemm_m16n8k16_chunk_kernelINS0_10ALayout_RMILNS0_14KReductionTypeE0EEENS0_15BLayout_TC_int4ILi2ELi64EEES4_Li8ELi8EEEvPKvS8_S8_Pviiiiii,"axG",@progbits,_ZN2at6native30tinygemm_m16n8k16_chunk_kernelINS0_10ALayout_RMILNS0_14KReductionTypeE0EEENS0_15BLayout_TC_int4ILi2ELi64EEES4_Li8ELi8EEEvPKvS8_S8_Pviiiiii,comdat
.Lfunc_end3:
	.size	_ZN2at6native30tinygemm_m16n8k16_chunk_kernelINS0_10ALayout_RMILNS0_14KReductionTypeE0EEENS0_15BLayout_TC_int4ILi2ELi64EEES4_Li8ELi8EEEvPKvS8_S8_Pviiiiii, .Lfunc_end3-_ZN2at6native30tinygemm_m16n8k16_chunk_kernelINS0_10ALayout_RMILNS0_14KReductionTypeE0EEENS0_15BLayout_TC_int4ILi2ELi64EEES4_Li8ELi8EEEvPKvS8_S8_Pviiiiii
                                        ; -- End function
	.section	.AMDGPU.csdata,"",@progbits
; Kernel info:
; codeLenInByte = 9856
; NumSgprs: 35
; NumVgprs: 70
; NumAgprs: 0
; TotalNumVgprs: 70
; ScratchSize: 0
; MemoryBound: 0
; FloatMode: 240
; IeeeMode: 1
; LDSByteSize: 8192 bytes/workgroup (compile time only)
; SGPRBlocks: 4
; VGPRBlocks: 8
; NumSGPRsForWavesPerEU: 35
; NumVGPRsForWavesPerEU: 70
; AccumOffset: 72
; Occupancy: 7
; WaveLimiterHint : 1
; COMPUTE_PGM_RSRC2:SCRATCH_EN: 0
; COMPUTE_PGM_RSRC2:USER_SGPR: 6
; COMPUTE_PGM_RSRC2:TRAP_HANDLER: 0
; COMPUTE_PGM_RSRC2:TGID_X_EN: 1
; COMPUTE_PGM_RSRC2:TGID_Y_EN: 1
; COMPUTE_PGM_RSRC2:TGID_Z_EN: 1
; COMPUTE_PGM_RSRC2:TIDIG_COMP_CNT: 1
; COMPUTE_PGM_RSRC3_GFX90A:ACCUM_OFFSET: 17
; COMPUTE_PGM_RSRC3_GFX90A:TG_SPLIT: 0
	.section	.text._ZN2at6native30tinygemm_m16n8k16_chunk_kernelINS0_10ALayout_RMILNS0_14KReductionTypeE0EEENS0_15BLayout_TC_int4ILi4ELi64EEES4_Li8ELi8EEEvPKvS8_S8_Pviiiiii,"axG",@progbits,_ZN2at6native30tinygemm_m16n8k16_chunk_kernelINS0_10ALayout_RMILNS0_14KReductionTypeE0EEENS0_15BLayout_TC_int4ILi4ELi64EEES4_Li8ELi8EEEvPKvS8_S8_Pviiiiii,comdat
	.protected	_ZN2at6native30tinygemm_m16n8k16_chunk_kernelINS0_10ALayout_RMILNS0_14KReductionTypeE0EEENS0_15BLayout_TC_int4ILi4ELi64EEES4_Li8ELi8EEEvPKvS8_S8_Pviiiiii ; -- Begin function _ZN2at6native30tinygemm_m16n8k16_chunk_kernelINS0_10ALayout_RMILNS0_14KReductionTypeE0EEENS0_15BLayout_TC_int4ILi4ELi64EEES4_Li8ELi8EEEvPKvS8_S8_Pviiiiii
	.globl	_ZN2at6native30tinygemm_m16n8k16_chunk_kernelINS0_10ALayout_RMILNS0_14KReductionTypeE0EEENS0_15BLayout_TC_int4ILi4ELi64EEES4_Li8ELi8EEEvPKvS8_S8_Pviiiiii
	.p2align	8
	.type	_ZN2at6native30tinygemm_m16n8k16_chunk_kernelINS0_10ALayout_RMILNS0_14KReductionTypeE0EEENS0_15BLayout_TC_int4ILi4ELi64EEES4_Li8ELi8EEEvPKvS8_S8_Pviiiiii,@function
_ZN2at6native30tinygemm_m16n8k16_chunk_kernelINS0_10ALayout_RMILNS0_14KReductionTypeE0EEENS0_15BLayout_TC_int4ILi4ELi64EEES4_Li8ELi8EEEvPKvS8_S8_Pviiiiii: ; @_ZN2at6native30tinygemm_m16n8k16_chunk_kernelINS0_10ALayout_RMILNS0_14KReductionTypeE0EEENS0_15BLayout_TC_int4ILi4ELi64EEES4_Li8ELi8EEEvPKvS8_S8_Pviiiiii
; %bb.0:
	s_load_dwordx2 s[2:3], s[4:5], 0x30
	s_load_dwordx4 s[20:23], s[4:5], 0x0
	s_load_dwordx8 s[12:19], s[4:5], 0x10
	v_bfe_u32 v28, v0, 10, 10
	s_mov_b32 s24, 0
	s_waitcnt lgkmcnt(0)
	s_ashr_i32 s9, s3, 31
	s_lshr_b32 s0, s9, 29
	v_and_b32_e32 v26, 0x3ff, v0
	s_add_i32 s0, s3, s0
	v_lshlrev_b32_e32 v0, 3, v28
	s_mov_b32 s25, s24
	s_and_b32 s19, s0, -8
	v_lshl_add_u32 v31, s6, 6, v0
	s_mov_b32 s26, s24
	s_mov_b32 s27, s24
	v_pk_mov_b32 v[0:1], s[24:25], s[24:25] op_sel:[0,1]
	v_cmp_gt_i32_e32 vcc, s19, v31
	v_pk_mov_b32 v[2:3], s[26:27], s[26:27] op_sel:[0,1]
	v_and_b32_e32 v29, 15, v26
	v_lshrrev_b32_e32 v27, 2, v26
	v_lshlrev_b32_e32 v30, 1, v26
	s_and_saveexec_b64 s[4:5], vcc
	s_cbranch_execz .LBB4_268
; %bb.1:
	v_lshl_or_b32 v2, s8, 4, v29
	v_mul_lo_u32 v0, v2, s18
	v_ashrrev_i32_e32 v1, 31, v0
	s_lshr_b32 s0, s9, 30
	v_lshlrev_b64 v[0:1], 1, v[0:1]
	s_add_i32 s0, s3, s0
	v_mov_b32_e32 v4, s21
	v_add_co_u32_e32 v32, vcc, s20, v0
	s_ashr_i32 s28, s0, 2
	s_lshl_b32 s0, s2, 5
	v_and_b32_e32 v3, 0xfc, v27
	v_addc_co_u32_e32 v33, vcc, v4, v1, vcc
	s_ashr_i32 s1, s0, 31
	s_lshl_b32 s6, s6, 10
	v_lshlrev_b32_e32 v0, 7, v28
	v_mov_b32_e32 v35, 0
	v_cmp_gt_i32_e32 vcc, s16, v2
	s_mul_i32 s28, s28, s7
	v_lshl_or_b32 v34, s7, 4, v29
	s_lshl_b32 s29, s2, 4
	v_add3_u32 v4, s6, v0, v3
	s_mov_b64 s[10:11], 0
	s_lshl_b64 s[24:25], s[0:1], 1
	v_mov_b32_e32 v36, 0xf000f
	v_mov_b32_e32 v37, 0x43004300
	s_mov_b32 s6, 0x7f800000
	s_movk_i32 s30, 0x7fff
	s_mov_b32 s31, 0x3020706
	v_mov_b32_e32 v0, 0
	v_mov_b32_e32 v1, v35
	;; [unrolled: 1-line block ×4, first 2 shown]
	s_branch .LBB4_3
.LBB4_2:                                ;   in Loop: Header=BB4_3 Depth=1
	s_or_b64 exec, exec, s[26:27]
	v_perm_b32 v39, v38, v39, s31
	v_perm_b32 v38, v5, v24, s31
	;; [unrolled: 1-line block ×3, first 2 shown]
	v_add_u32_e32 v31, 64, v31
	v_mfma_f32_16x16x16bf16_1k v[66:69], v[8:9], v[38:39], 0
	v_perm_b32 v9, v42, v43, s31
	v_perm_b32 v8, v40, v41, s31
	;; [unrolled: 1-line block ×7, first 2 shown]
	v_mfma_f32_16x16x16bf16_1k v[6:9], v[6:7], v[8:9], 0
	s_nop 2
	v_pk_add_f32 v[2:3], v[2:3], v[68:69]
	v_pk_add_f32 v[0:1], v[0:1], v[66:67]
	v_cmp_le_i32_e64 s[0:1], s19, v31
	s_or_b64 s[10:11], s[0:1], s[10:11]
	v_add_u32_e32 v4, 0x400, v4
	s_nop 2
	v_pk_add_f32 v[2:3], v[2:3], v[8:9]
	v_mfma_f32_16x16x16bf16_1k v[38:41], v[16:17], v[38:39], 0
	v_perm_b32 v17, v50, v51, s31
	v_perm_b32 v16, v48, v49, s31
	v_pk_add_f32 v[0:1], v[0:1], v[6:7]
	s_nop 0
	v_mfma_f32_16x16x16bf16_1k v[14:17], v[14:15], v[16:17], 0
	s_nop 5
	v_pk_add_f32 v[2:3], v[2:3], v[40:41]
	v_pk_add_f32 v[6:7], v[0:1], v[38:39]
	v_mfma_f32_16x16x16bf16_1k v[42:45], v[10:11], v[24:25], 0
	v_perm_b32 v11, v58, v59, s31
	v_perm_b32 v10, v56, v57, s31
	;; [unrolled: 1-line block ×4, first 2 shown]
	v_pk_add_f32 v[8:9], v[2:3], v[16:17]
	v_pk_add_f32 v[6:7], v[6:7], v[14:15]
	s_nop 4
	v_pk_add_f32 v[8:9], v[8:9], v[44:45]
	v_mfma_f32_16x16x16bf16_1k v[20:23], v[20:21], v[10:11], 0
	v_pk_add_f32 v[6:7], v[6:7], v[42:43]
	v_mfma_f32_16x16x16bf16_1k v[0:3], v[18:19], v[24:25], 0
	s_nop 7
	s_nop 0
	v_pk_add_f32 v[8:9], v[8:9], v[22:23]
	v_pk_add_f32 v[6:7], v[6:7], v[20:21]
	;; [unrolled: 1-line block ×4, first 2 shown]
	v_mfma_f32_16x16x16bf16_1k v[0:3], v[12:13], v[46:47], 0
	s_nop 7
	s_nop 2
	v_pk_add_f32 v[2:3], v[8:9], v[2:3]
	v_pk_add_f32 v[0:1], v[6:7], v[0:1]
	s_andn2_b64 exec, exec, s[10:11]
	s_cbranch_execz .LBB4_267
.LBB4_3:                                ; =>This Inner Loop Header: Depth=1
	v_ashrrev_i32_e32 v5, 31, v4
	v_lshlrev_b64 v[6:7], 1, v[4:5]
	v_add_co_u32_e64 v22, s[0:1], v32, v6
	v_addc_co_u32_e64 v23, s[0:1], v33, v7, s[0:1]
	v_mov_b32_e32 v8, 0
	v_mov_b32_e32 v9, 0
	;; [unrolled: 1-line block ×4, first 2 shown]
	s_and_saveexec_b64 s[0:1], vcc
	s_cbranch_execz .LBB4_5
; %bb.4:                                ;   in Loop: Header=BB4_3 Depth=1
	global_load_dwordx2 v[8:9], v[22:23], off
	global_load_dwordx2 v[6:7], v[22:23], off offset:32
.LBB4_5:                                ;   in Loop: Header=BB4_3 Depth=1
	s_or_b64 exec, exec, s[0:1]
	v_mov_b32_e32 v10, 0
	v_mov_b32_e32 v16, 0
	;; [unrolled: 1-line block ×5, first 2 shown]
	s_and_saveexec_b64 s[0:1], vcc
	s_cbranch_execz .LBB4_7
; %bb.6:                                ;   in Loop: Header=BB4_3 Depth=1
	global_load_dwordx2 v[16:17], v[22:23], off offset:64
	global_load_dwordx2 v[14:15], v[22:23], off offset:96
.LBB4_7:                                ;   in Loop: Header=BB4_3 Depth=1
	s_or_b64 exec, exec, s[0:1]
	v_mov_b32_e32 v11, 0
	v_mov_b32_e32 v20, 0
	;; [unrolled: 1-line block ×3, first 2 shown]
	s_and_saveexec_b64 s[0:1], vcc
	s_cbranch_execz .LBB4_9
; %bb.8:                                ;   in Loop: Header=BB4_3 Depth=1
	global_load_dwordx2 v[10:11], v[22:23], off offset:128
	global_load_dwordx2 v[20:21], v[22:23], off offset:160
.LBB4_9:                                ;   in Loop: Header=BB4_3 Depth=1
	s_or_b64 exec, exec, s[0:1]
	v_mov_b32_e32 v18, 0
	v_mov_b32_e32 v19, 0
	;; [unrolled: 1-line block ×4, first 2 shown]
	s_and_saveexec_b64 s[0:1], vcc
	s_cbranch_execz .LBB4_11
; %bb.10:                               ;   in Loop: Header=BB4_3 Depth=1
	global_load_dwordx2 v[18:19], v[22:23], off offset:192
	global_load_dwordx2 v[12:13], v[22:23], off offset:224
.LBB4_11:                               ;   in Loop: Header=BB4_3 Depth=1
	s_or_b64 exec, exec, s[0:1]
	v_ashrrev_i32_e32 v5, 2, v31
	v_add_u32_e32 v22, s28, v5
	v_lshl_add_u32 v22, v22, 7, v30
	v_ashrrev_i32_e32 v23, 31, v22
	v_lshlrev_b64 v[22:23], 2, v[22:23]
	v_mov_b32_e32 v24, s23
	v_add_co_u32_e64 v38, s[0:1], s22, v22
	v_addc_co_u32_e64 v39, s[0:1], v24, v23, s[0:1]
	v_mul_lo_u32 v5, s29, v5
	global_load_dwordx2 v[24:25], v[38:39], off
	global_load_dwordx2 v[22:23], v[38:39], off offset:512
	v_add_lshl_u32 v38, v34, v5, 1
	v_ashrrev_i32_e32 v39, 31, v38
	v_lshlrev_b64 v[38:39], 1, v[38:39]
	v_mov_b32_e32 v5, s13
	v_add_co_u32_e64 v38, s[0:1], s12, v38
	v_addc_co_u32_e64 v39, s[0:1], v5, v39, s[0:1]
	v_mov_b32_e32 v5, s25
	v_add_co_u32_e64 v40, s[0:1], s24, v38
	v_addc_co_u32_e64 v41, s[0:1], v39, v5, s[0:1]
	global_load_dword v5, v[38:39], off
	global_load_dword v44, v[40:41], off
                                        ; implicit-def: $vgpr45
	s_waitcnt vmcnt(3)
	;;#ASMSTART
	v_and_or_b32 v38, v24, v36, v37
	;;#ASMEND
	v_lshrrev_b32_e32 v39, 4, v24
	v_lshrrev_b32_e32 v40, 8, v24
	;; [unrolled: 1-line block ×3, first 2 shown]
	;;#ASMSTART
	v_and_or_b32 v39, v39, v36, v37
	;;#ASMEND
	;;#ASMSTART
	v_and_or_b32 v41, v40, v36, v37
	;;#ASMEND
	;; [unrolled: 3-line block ×3, first 2 shown]
	v_lshlrev_b32_e32 v24, 16, v38
	v_add_f32_e32 v24, 0xc3080000, v24
	v_and_b32_e32 v40, 0x7f800000, v24
	v_cmp_ne_u32_e64 s[0:1], s6, v40
	s_and_saveexec_b64 s[26:27], s[0:1]
	s_xor_b64 s[0:1], exec, s[26:27]
; %bb.12:                               ;   in Loop: Header=BB4_3 Depth=1
	v_bfe_u32 v40, v24, 16, 1
	v_add3_u32 v45, v24, v40, s30
                                        ; implicit-def: $vgpr24
; %bb.13:                               ;   in Loop: Header=BB4_3 Depth=1
	s_andn2_saveexec_b64 s[26:27], s[0:1]
; %bb.14:                               ;   in Loop: Header=BB4_3 Depth=1
	v_or_b32_e32 v40, 0x10000, v24
	v_cmp_eq_u32_sdwa s[0:1], v24, v35 src0_sel:WORD_0 src1_sel:DWORD
	v_cndmask_b32_e64 v45, v40, v24, s[0:1]
; %bb.15:                               ;   in Loop: Header=BB4_3 Depth=1
	s_or_b64 exec, exec, s[26:27]
	v_and_b32_e32 v24, 0xffff0000, v38
	v_add_f32_e32 v38, 0xc3080000, v24
	v_and_b32_e32 v24, 0x7f800000, v38
	v_cmp_ne_u32_e64 s[0:1], s6, v24
                                        ; implicit-def: $vgpr24
	s_and_saveexec_b64 s[26:27], s[0:1]
	s_xor_b64 s[0:1], exec, s[26:27]
; %bb.16:                               ;   in Loop: Header=BB4_3 Depth=1
	v_bfe_u32 v24, v38, 16, 1
	v_add3_u32 v24, v38, v24, s30
                                        ; implicit-def: $vgpr38
; %bb.17:                               ;   in Loop: Header=BB4_3 Depth=1
	s_andn2_saveexec_b64 s[26:27], s[0:1]
; %bb.18:                               ;   in Loop: Header=BB4_3 Depth=1
	v_or_b32_e32 v24, 0x10000, v38
	v_cmp_eq_u32_sdwa s[0:1], v38, v35 src0_sel:WORD_0 src1_sel:DWORD
	v_cndmask_b32_e64 v24, v24, v38, s[0:1]
; %bb.19:                               ;   in Loop: Header=BB4_3 Depth=1
	s_or_b64 exec, exec, s[26:27]
	v_lshlrev_b32_e32 v38, 16, v39
	v_add_f32_e32 v40, 0xc3080000, v38
	v_and_b32_e32 v38, 0x7f800000, v40
	v_cmp_ne_u32_e64 s[0:1], s6, v38
                                        ; implicit-def: $vgpr38
	s_and_saveexec_b64 s[26:27], s[0:1]
	s_xor_b64 s[0:1], exec, s[26:27]
; %bb.20:                               ;   in Loop: Header=BB4_3 Depth=1
	v_bfe_u32 v38, v40, 16, 1
	v_add3_u32 v38, v40, v38, s30
                                        ; implicit-def: $vgpr40
; %bb.21:                               ;   in Loop: Header=BB4_3 Depth=1
	s_andn2_saveexec_b64 s[26:27], s[0:1]
; %bb.22:                               ;   in Loop: Header=BB4_3 Depth=1
	v_or_b32_e32 v38, 0x10000, v40
	v_cmp_eq_u32_sdwa s[0:1], v40, v35 src0_sel:WORD_0 src1_sel:DWORD
	v_cndmask_b32_e64 v38, v38, v40, s[0:1]
; %bb.23:                               ;   in Loop: Header=BB4_3 Depth=1
	s_or_b64 exec, exec, s[26:27]
	v_and_b32_e32 v39, 0xffff0000, v39
	v_add_f32_e32 v40, 0xc3080000, v39
	v_and_b32_e32 v39, 0x7f800000, v40
	v_cmp_ne_u32_e64 s[0:1], s6, v39
                                        ; implicit-def: $vgpr39
	s_and_saveexec_b64 s[26:27], s[0:1]
	s_xor_b64 s[0:1], exec, s[26:27]
; %bb.24:                               ;   in Loop: Header=BB4_3 Depth=1
	v_bfe_u32 v39, v40, 16, 1
	v_add3_u32 v39, v40, v39, s30
                                        ; implicit-def: $vgpr40
; %bb.25:                               ;   in Loop: Header=BB4_3 Depth=1
	s_andn2_saveexec_b64 s[26:27], s[0:1]
; %bb.26:                               ;   in Loop: Header=BB4_3 Depth=1
	v_or_b32_e32 v39, 0x10000, v40
	v_cmp_eq_u32_sdwa s[0:1], v40, v35 src0_sel:WORD_0 src1_sel:DWORD
	v_cndmask_b32_e64 v39, v39, v40, s[0:1]
; %bb.27:                               ;   in Loop: Header=BB4_3 Depth=1
	s_or_b64 exec, exec, s[26:27]
	v_lshlrev_b32_e32 v40, 16, v41
	v_add_f32_e32 v42, 0xc3080000, v40
	v_and_b32_e32 v40, 0x7f800000, v42
	v_cmp_ne_u32_e64 s[0:1], s6, v40
                                        ; implicit-def: $vgpr40
	s_and_saveexec_b64 s[26:27], s[0:1]
	s_xor_b64 s[0:1], exec, s[26:27]
; %bb.28:                               ;   in Loop: Header=BB4_3 Depth=1
	v_bfe_u32 v40, v42, 16, 1
	v_add3_u32 v40, v42, v40, s30
                                        ; implicit-def: $vgpr42
; %bb.29:                               ;   in Loop: Header=BB4_3 Depth=1
	s_andn2_saveexec_b64 s[26:27], s[0:1]
; %bb.30:                               ;   in Loop: Header=BB4_3 Depth=1
	v_or_b32_e32 v40, 0x10000, v42
	v_cmp_eq_u32_sdwa s[0:1], v42, v35 src0_sel:WORD_0 src1_sel:DWORD
	v_cndmask_b32_e64 v40, v40, v42, s[0:1]
; %bb.31:                               ;   in Loop: Header=BB4_3 Depth=1
	s_or_b64 exec, exec, s[26:27]
	v_and_b32_e32 v41, 0xffff0000, v41
	v_add_f32_e32 v42, 0xc3080000, v41
	v_and_b32_e32 v41, 0x7f800000, v42
	v_cmp_ne_u32_e64 s[0:1], s6, v41
                                        ; implicit-def: $vgpr41
	s_and_saveexec_b64 s[26:27], s[0:1]
	s_xor_b64 s[0:1], exec, s[26:27]
; %bb.32:                               ;   in Loop: Header=BB4_3 Depth=1
	v_bfe_u32 v41, v42, 16, 1
	v_add3_u32 v41, v42, v41, s30
                                        ; implicit-def: $vgpr42
; %bb.33:                               ;   in Loop: Header=BB4_3 Depth=1
	s_andn2_saveexec_b64 s[26:27], s[0:1]
; %bb.34:                               ;   in Loop: Header=BB4_3 Depth=1
	v_or_b32_e32 v41, 0x10000, v42
	v_cmp_eq_u32_sdwa s[0:1], v42, v35 src0_sel:WORD_0 src1_sel:DWORD
	v_cndmask_b32_e64 v41, v41, v42, s[0:1]
; %bb.35:                               ;   in Loop: Header=BB4_3 Depth=1
	s_or_b64 exec, exec, s[26:27]
	v_lshlrev_b32_e32 v42, 16, v43
	v_add_f32_e32 v46, 0xc3080000, v42
	v_and_b32_e32 v42, 0x7f800000, v46
	v_cmp_ne_u32_e64 s[0:1], s6, v42
                                        ; implicit-def: $vgpr42
	s_and_saveexec_b64 s[26:27], s[0:1]
	s_xor_b64 s[0:1], exec, s[26:27]
; %bb.36:                               ;   in Loop: Header=BB4_3 Depth=1
	v_bfe_u32 v42, v46, 16, 1
	v_add3_u32 v42, v46, v42, s30
                                        ; implicit-def: $vgpr46
; %bb.37:                               ;   in Loop: Header=BB4_3 Depth=1
	s_andn2_saveexec_b64 s[26:27], s[0:1]
; %bb.38:                               ;   in Loop: Header=BB4_3 Depth=1
	v_or_b32_e32 v42, 0x10000, v46
	v_cmp_eq_u32_sdwa s[0:1], v46, v35 src0_sel:WORD_0 src1_sel:DWORD
	v_cndmask_b32_e64 v42, v42, v46, s[0:1]
; %bb.39:                               ;   in Loop: Header=BB4_3 Depth=1
	s_or_b64 exec, exec, s[26:27]
	v_and_b32_e32 v43, 0xffff0000, v43
	v_add_f32_e32 v46, 0xc3080000, v43
	v_and_b32_e32 v43, 0x7f800000, v46
	v_cmp_ne_u32_e64 s[0:1], s6, v43
                                        ; implicit-def: $vgpr43
	s_and_saveexec_b64 s[26:27], s[0:1]
	s_xor_b64 s[0:1], exec, s[26:27]
; %bb.40:                               ;   in Loop: Header=BB4_3 Depth=1
	v_bfe_u32 v43, v46, 16, 1
	v_add3_u32 v43, v46, v43, s30
                                        ; implicit-def: $vgpr46
; %bb.41:                               ;   in Loop: Header=BB4_3 Depth=1
	s_andn2_saveexec_b64 s[26:27], s[0:1]
; %bb.42:                               ;   in Loop: Header=BB4_3 Depth=1
	v_or_b32_e32 v43, 0x10000, v46
	v_cmp_eq_u32_sdwa s[0:1], v46, v35 src0_sel:WORD_0 src1_sel:DWORD
	v_cndmask_b32_e64 v43, v43, v46, s[0:1]
; %bb.43:                               ;   in Loop: Header=BB4_3 Depth=1
	s_or_b64 exec, exec, s[26:27]
	v_and_b32_e32 v45, 0xffff0000, v45
	s_waitcnt vmcnt(1)
	v_lshlrev_b32_e32 v51, 16, v5
	v_and_b32_e32 v52, 0xffff0000, v5
	v_fma_f32 v45, v45, v51, v52
	v_and_b32_e32 v5, 0x7f800000, v45
	v_cmp_ne_u32_e64 s[0:1], s6, v5
                                        ; implicit-def: $vgpr5
	s_and_saveexec_b64 s[26:27], s[0:1]
	s_xor_b64 s[0:1], exec, s[26:27]
; %bb.44:                               ;   in Loop: Header=BB4_3 Depth=1
	v_bfe_u32 v5, v45, 16, 1
	v_add3_u32 v5, v45, v5, s30
                                        ; implicit-def: $vgpr45
; %bb.45:                               ;   in Loop: Header=BB4_3 Depth=1
	s_andn2_saveexec_b64 s[26:27], s[0:1]
; %bb.46:                               ;   in Loop: Header=BB4_3 Depth=1
	v_or_b32_e32 v5, 0x10000, v45
	v_cmp_eq_u32_sdwa s[0:1], v45, v35 src0_sel:WORD_0 src1_sel:DWORD
	v_cndmask_b32_e64 v5, v5, v45, s[0:1]
; %bb.47:                               ;   in Loop: Header=BB4_3 Depth=1
	s_or_b64 exec, exec, s[26:27]
	v_and_b32_e32 v24, 0xffff0000, v24
	v_fma_f32 v45, v24, v51, v52
	v_and_b32_e32 v24, 0x7f800000, v45
	v_cmp_ne_u32_e64 s[0:1], s6, v24
                                        ; implicit-def: $vgpr24
	s_and_saveexec_b64 s[26:27], s[0:1]
	s_xor_b64 s[0:1], exec, s[26:27]
; %bb.48:                               ;   in Loop: Header=BB4_3 Depth=1
	v_bfe_u32 v24, v45, 16, 1
	v_add3_u32 v24, v45, v24, s30
                                        ; implicit-def: $vgpr45
; %bb.49:                               ;   in Loop: Header=BB4_3 Depth=1
	s_andn2_saveexec_b64 s[26:27], s[0:1]
; %bb.50:                               ;   in Loop: Header=BB4_3 Depth=1
	v_or_b32_e32 v24, 0x10000, v45
	v_cmp_eq_u32_sdwa s[0:1], v45, v35 src0_sel:WORD_0 src1_sel:DWORD
	v_cndmask_b32_e64 v24, v24, v45, s[0:1]
; %bb.51:                               ;   in Loop: Header=BB4_3 Depth=1
	s_or_b64 exec, exec, s[26:27]
	v_and_b32_e32 v38, 0xffff0000, v38
	v_fma_f32 v45, v38, v51, v52
	v_and_b32_e32 v38, 0x7f800000, v45
	v_cmp_ne_u32_e64 s[0:1], s6, v38
                                        ; implicit-def: $vgpr38
	s_and_saveexec_b64 s[26:27], s[0:1]
	s_xor_b64 s[0:1], exec, s[26:27]
; %bb.52:                               ;   in Loop: Header=BB4_3 Depth=1
	v_bfe_u32 v38, v45, 16, 1
	v_add3_u32 v38, v45, v38, s30
                                        ; implicit-def: $vgpr45
; %bb.53:                               ;   in Loop: Header=BB4_3 Depth=1
	s_andn2_saveexec_b64 s[26:27], s[0:1]
; %bb.54:                               ;   in Loop: Header=BB4_3 Depth=1
	v_or_b32_e32 v38, 0x10000, v45
	v_cmp_eq_u32_sdwa s[0:1], v45, v35 src0_sel:WORD_0 src1_sel:DWORD
	v_cndmask_b32_e64 v38, v38, v45, s[0:1]
; %bb.55:                               ;   in Loop: Header=BB4_3 Depth=1
	s_or_b64 exec, exec, s[26:27]
	v_and_b32_e32 v39, 0xffff0000, v39
	v_fma_f32 v45, v39, v51, v52
	v_and_b32_e32 v39, 0x7f800000, v45
	v_cmp_ne_u32_e64 s[0:1], s6, v39
                                        ; implicit-def: $vgpr39
	s_and_saveexec_b64 s[26:27], s[0:1]
	s_xor_b64 s[0:1], exec, s[26:27]
; %bb.56:                               ;   in Loop: Header=BB4_3 Depth=1
	v_bfe_u32 v39, v45, 16, 1
	v_add3_u32 v39, v45, v39, s30
                                        ; implicit-def: $vgpr45
; %bb.57:                               ;   in Loop: Header=BB4_3 Depth=1
	s_andn2_saveexec_b64 s[26:27], s[0:1]
; %bb.58:                               ;   in Loop: Header=BB4_3 Depth=1
	v_or_b32_e32 v39, 0x10000, v45
	v_cmp_eq_u32_sdwa s[0:1], v45, v35 src0_sel:WORD_0 src1_sel:DWORD
	v_cndmask_b32_e64 v39, v39, v45, s[0:1]
; %bb.59:                               ;   in Loop: Header=BB4_3 Depth=1
	s_or_b64 exec, exec, s[26:27]
	v_and_b32_e32 v40, 0xffff0000, v40
	v_fma_f32 v45, v40, v51, v52
	v_and_b32_e32 v40, 0x7f800000, v45
	v_cmp_ne_u32_e64 s[0:1], s6, v40
                                        ; implicit-def: $vgpr40
	s_and_saveexec_b64 s[26:27], s[0:1]
	s_xor_b64 s[0:1], exec, s[26:27]
; %bb.60:                               ;   in Loop: Header=BB4_3 Depth=1
	v_bfe_u32 v40, v45, 16, 1
	v_add3_u32 v40, v45, v40, s30
                                        ; implicit-def: $vgpr45
; %bb.61:                               ;   in Loop: Header=BB4_3 Depth=1
	s_andn2_saveexec_b64 s[26:27], s[0:1]
; %bb.62:                               ;   in Loop: Header=BB4_3 Depth=1
	v_or_b32_e32 v40, 0x10000, v45
	v_cmp_eq_u32_sdwa s[0:1], v45, v35 src0_sel:WORD_0 src1_sel:DWORD
	v_cndmask_b32_e64 v40, v40, v45, s[0:1]
; %bb.63:                               ;   in Loop: Header=BB4_3 Depth=1
	s_or_b64 exec, exec, s[26:27]
	v_and_b32_e32 v41, 0xffff0000, v41
	v_fma_f32 v45, v41, v51, v52
	v_and_b32_e32 v41, 0x7f800000, v45
	v_cmp_ne_u32_e64 s[0:1], s6, v41
                                        ; implicit-def: $vgpr41
	s_and_saveexec_b64 s[26:27], s[0:1]
	s_xor_b64 s[0:1], exec, s[26:27]
; %bb.64:                               ;   in Loop: Header=BB4_3 Depth=1
	v_bfe_u32 v41, v45, 16, 1
	v_add3_u32 v41, v45, v41, s30
                                        ; implicit-def: $vgpr45
; %bb.65:                               ;   in Loop: Header=BB4_3 Depth=1
	s_andn2_saveexec_b64 s[26:27], s[0:1]
; %bb.66:                               ;   in Loop: Header=BB4_3 Depth=1
	v_or_b32_e32 v41, 0x10000, v45
	v_cmp_eq_u32_sdwa s[0:1], v45, v35 src0_sel:WORD_0 src1_sel:DWORD
	v_cndmask_b32_e64 v41, v41, v45, s[0:1]
; %bb.67:                               ;   in Loop: Header=BB4_3 Depth=1
	s_or_b64 exec, exec, s[26:27]
	v_and_b32_e32 v42, 0xffff0000, v42
	v_fma_f32 v45, v42, v51, v52
	v_and_b32_e32 v42, 0x7f800000, v45
	v_cmp_ne_u32_e64 s[0:1], s6, v42
                                        ; implicit-def: $vgpr42
	s_and_saveexec_b64 s[26:27], s[0:1]
	s_xor_b64 s[0:1], exec, s[26:27]
; %bb.68:                               ;   in Loop: Header=BB4_3 Depth=1
	v_bfe_u32 v42, v45, 16, 1
	v_add3_u32 v42, v45, v42, s30
                                        ; implicit-def: $vgpr45
; %bb.69:                               ;   in Loop: Header=BB4_3 Depth=1
	s_andn2_saveexec_b64 s[26:27], s[0:1]
; %bb.70:                               ;   in Loop: Header=BB4_3 Depth=1
	v_or_b32_e32 v42, 0x10000, v45
	v_cmp_eq_u32_sdwa s[0:1], v45, v35 src0_sel:WORD_0 src1_sel:DWORD
	v_cndmask_b32_e64 v42, v42, v45, s[0:1]
; %bb.71:                               ;   in Loop: Header=BB4_3 Depth=1
	s_or_b64 exec, exec, s[26:27]
	v_and_b32_e32 v43, 0xffff0000, v43
	v_fma_f32 v45, v43, v51, v52
	v_and_b32_e32 v43, 0x7f800000, v45
	v_cmp_ne_u32_e64 s[0:1], s6, v43
                                        ; implicit-def: $vgpr43
	s_and_saveexec_b64 s[26:27], s[0:1]
	s_xor_b64 s[0:1], exec, s[26:27]
; %bb.72:                               ;   in Loop: Header=BB4_3 Depth=1
	v_bfe_u32 v43, v45, 16, 1
	v_add3_u32 v43, v45, v43, s30
                                        ; implicit-def: $vgpr45
; %bb.73:                               ;   in Loop: Header=BB4_3 Depth=1
	s_andn2_saveexec_b64 s[26:27], s[0:1]
; %bb.74:                               ;   in Loop: Header=BB4_3 Depth=1
	v_or_b32_e32 v43, 0x10000, v45
	v_cmp_eq_u32_sdwa s[0:1], v45, v35 src0_sel:WORD_0 src1_sel:DWORD
	v_cndmask_b32_e64 v43, v43, v45, s[0:1]
; %bb.75:                               ;   in Loop: Header=BB4_3 Depth=1
	s_or_b64 exec, exec, s[26:27]
	v_lshrrev_b32_e32 v46, 4, v25
	;;#ASMSTART
	v_and_or_b32 v45, v25, v36, v37
	;;#ASMEND
	;;#ASMSTART
	v_and_or_b32 v47, v46, v36, v37
	;;#ASMEND
	v_lshrrev_b32_e32 v46, 8, v25
	v_lshrrev_b32_e32 v25, 12, v25
	;;#ASMSTART
	v_and_or_b32 v49, v46, v36, v37
	;;#ASMEND
	;;#ASMSTART
	v_and_or_b32 v53, v25, v36, v37
	;;#ASMEND
	v_lshlrev_b32_e32 v25, 16, v45
	v_add_f32_e32 v46, 0xc3080000, v25
	v_and_b32_e32 v25, 0x7f800000, v46
	v_cmp_ne_u32_e64 s[0:1], s6, v25
                                        ; implicit-def: $vgpr25
	s_and_saveexec_b64 s[26:27], s[0:1]
	s_xor_b64 s[0:1], exec, s[26:27]
; %bb.76:                               ;   in Loop: Header=BB4_3 Depth=1
	v_bfe_u32 v25, v46, 16, 1
	v_add3_u32 v25, v46, v25, s30
                                        ; implicit-def: $vgpr46
; %bb.77:                               ;   in Loop: Header=BB4_3 Depth=1
	s_andn2_saveexec_b64 s[26:27], s[0:1]
; %bb.78:                               ;   in Loop: Header=BB4_3 Depth=1
	v_or_b32_e32 v25, 0x10000, v46
	v_cmp_eq_u32_sdwa s[0:1], v46, v35 src0_sel:WORD_0 src1_sel:DWORD
	v_cndmask_b32_e64 v25, v25, v46, s[0:1]
; %bb.79:                               ;   in Loop: Header=BB4_3 Depth=1
	s_or_b64 exec, exec, s[26:27]
	v_and_b32_e32 v45, 0xffff0000, v45
	v_add_f32_e32 v46, 0xc3080000, v45
	v_and_b32_e32 v45, 0x7f800000, v46
	v_cmp_ne_u32_e64 s[0:1], s6, v45
                                        ; implicit-def: $vgpr45
	s_and_saveexec_b64 s[26:27], s[0:1]
	s_xor_b64 s[0:1], exec, s[26:27]
; %bb.80:                               ;   in Loop: Header=BB4_3 Depth=1
	v_bfe_u32 v45, v46, 16, 1
	v_add3_u32 v45, v46, v45, s30
                                        ; implicit-def: $vgpr46
; %bb.81:                               ;   in Loop: Header=BB4_3 Depth=1
	s_andn2_saveexec_b64 s[26:27], s[0:1]
; %bb.82:                               ;   in Loop: Header=BB4_3 Depth=1
	v_or_b32_e32 v45, 0x10000, v46
	v_cmp_eq_u32_sdwa s[0:1], v46, v35 src0_sel:WORD_0 src1_sel:DWORD
	v_cndmask_b32_e64 v45, v45, v46, s[0:1]
; %bb.83:                               ;   in Loop: Header=BB4_3 Depth=1
	s_or_b64 exec, exec, s[26:27]
	v_lshlrev_b32_e32 v46, 16, v47
	v_add_f32_e32 v48, 0xc3080000, v46
	v_and_b32_e32 v46, 0x7f800000, v48
	v_cmp_ne_u32_e64 s[0:1], s6, v46
                                        ; implicit-def: $vgpr46
	s_and_saveexec_b64 s[26:27], s[0:1]
	s_xor_b64 s[0:1], exec, s[26:27]
; %bb.84:                               ;   in Loop: Header=BB4_3 Depth=1
	v_bfe_u32 v46, v48, 16, 1
	v_add3_u32 v46, v48, v46, s30
                                        ; implicit-def: $vgpr48
; %bb.85:                               ;   in Loop: Header=BB4_3 Depth=1
	s_andn2_saveexec_b64 s[26:27], s[0:1]
; %bb.86:                               ;   in Loop: Header=BB4_3 Depth=1
	v_or_b32_e32 v46, 0x10000, v48
	v_cmp_eq_u32_sdwa s[0:1], v48, v35 src0_sel:WORD_0 src1_sel:DWORD
	v_cndmask_b32_e64 v46, v46, v48, s[0:1]
; %bb.87:                               ;   in Loop: Header=BB4_3 Depth=1
	s_or_b64 exec, exec, s[26:27]
	v_and_b32_e32 v47, 0xffff0000, v47
	v_add_f32_e32 v48, 0xc3080000, v47
	v_and_b32_e32 v47, 0x7f800000, v48
	v_cmp_ne_u32_e64 s[0:1], s6, v47
                                        ; implicit-def: $vgpr47
	s_and_saveexec_b64 s[26:27], s[0:1]
	s_xor_b64 s[0:1], exec, s[26:27]
; %bb.88:                               ;   in Loop: Header=BB4_3 Depth=1
	v_bfe_u32 v47, v48, 16, 1
	v_add3_u32 v47, v48, v47, s30
                                        ; implicit-def: $vgpr48
; %bb.89:                               ;   in Loop: Header=BB4_3 Depth=1
	s_andn2_saveexec_b64 s[26:27], s[0:1]
; %bb.90:                               ;   in Loop: Header=BB4_3 Depth=1
	v_or_b32_e32 v47, 0x10000, v48
	v_cmp_eq_u32_sdwa s[0:1], v48, v35 src0_sel:WORD_0 src1_sel:DWORD
	v_cndmask_b32_e64 v47, v47, v48, s[0:1]
; %bb.91:                               ;   in Loop: Header=BB4_3 Depth=1
	s_or_b64 exec, exec, s[26:27]
	v_lshlrev_b32_e32 v48, 16, v49
	v_add_f32_e32 v50, 0xc3080000, v48
	v_and_b32_e32 v48, 0x7f800000, v50
	v_cmp_ne_u32_e64 s[0:1], s6, v48
                                        ; implicit-def: $vgpr48
	s_and_saveexec_b64 s[26:27], s[0:1]
	s_xor_b64 s[0:1], exec, s[26:27]
; %bb.92:                               ;   in Loop: Header=BB4_3 Depth=1
	v_bfe_u32 v48, v50, 16, 1
	v_add3_u32 v48, v50, v48, s30
                                        ; implicit-def: $vgpr50
; %bb.93:                               ;   in Loop: Header=BB4_3 Depth=1
	s_andn2_saveexec_b64 s[26:27], s[0:1]
; %bb.94:                               ;   in Loop: Header=BB4_3 Depth=1
	v_or_b32_e32 v48, 0x10000, v50
	v_cmp_eq_u32_sdwa s[0:1], v50, v35 src0_sel:WORD_0 src1_sel:DWORD
	v_cndmask_b32_e64 v48, v48, v50, s[0:1]
; %bb.95:                               ;   in Loop: Header=BB4_3 Depth=1
	s_or_b64 exec, exec, s[26:27]
	v_and_b32_e32 v49, 0xffff0000, v49
	v_add_f32_e32 v50, 0xc3080000, v49
	v_and_b32_e32 v49, 0x7f800000, v50
	v_cmp_ne_u32_e64 s[0:1], s6, v49
                                        ; implicit-def: $vgpr49
	s_and_saveexec_b64 s[26:27], s[0:1]
	s_xor_b64 s[0:1], exec, s[26:27]
; %bb.96:                               ;   in Loop: Header=BB4_3 Depth=1
	v_bfe_u32 v49, v50, 16, 1
	v_add3_u32 v49, v50, v49, s30
                                        ; implicit-def: $vgpr50
; %bb.97:                               ;   in Loop: Header=BB4_3 Depth=1
	s_andn2_saveexec_b64 s[26:27], s[0:1]
; %bb.98:                               ;   in Loop: Header=BB4_3 Depth=1
	v_or_b32_e32 v49, 0x10000, v50
	v_cmp_eq_u32_sdwa s[0:1], v50, v35 src0_sel:WORD_0 src1_sel:DWORD
	v_cndmask_b32_e64 v49, v49, v50, s[0:1]
; %bb.99:                               ;   in Loop: Header=BB4_3 Depth=1
	s_or_b64 exec, exec, s[26:27]
	v_lshlrev_b32_e32 v50, 16, v53
	v_add_f32_e32 v54, 0xc3080000, v50
	v_and_b32_e32 v50, 0x7f800000, v54
	v_cmp_ne_u32_e64 s[0:1], s6, v50
                                        ; implicit-def: $vgpr50
	s_and_saveexec_b64 s[26:27], s[0:1]
	s_xor_b64 s[0:1], exec, s[26:27]
; %bb.100:                              ;   in Loop: Header=BB4_3 Depth=1
	v_bfe_u32 v50, v54, 16, 1
	v_add3_u32 v50, v54, v50, s30
                                        ; implicit-def: $vgpr54
; %bb.101:                              ;   in Loop: Header=BB4_3 Depth=1
	s_andn2_saveexec_b64 s[26:27], s[0:1]
; %bb.102:                              ;   in Loop: Header=BB4_3 Depth=1
	v_or_b32_e32 v50, 0x10000, v54
	v_cmp_eq_u32_sdwa s[0:1], v54, v35 src0_sel:WORD_0 src1_sel:DWORD
	v_cndmask_b32_e64 v50, v50, v54, s[0:1]
; %bb.103:                              ;   in Loop: Header=BB4_3 Depth=1
	s_or_b64 exec, exec, s[26:27]
	v_and_b32_e32 v53, 0xffff0000, v53
	v_add_f32_e32 v54, 0xc3080000, v53
	v_and_b32_e32 v53, 0x7f800000, v54
	v_cmp_ne_u32_e64 s[0:1], s6, v53
                                        ; implicit-def: $vgpr53
	s_and_saveexec_b64 s[26:27], s[0:1]
	s_xor_b64 s[0:1], exec, s[26:27]
; %bb.104:                              ;   in Loop: Header=BB4_3 Depth=1
	v_bfe_u32 v53, v54, 16, 1
	v_add3_u32 v53, v54, v53, s30
                                        ; implicit-def: $vgpr54
; %bb.105:                              ;   in Loop: Header=BB4_3 Depth=1
	s_andn2_saveexec_b64 s[26:27], s[0:1]
; %bb.106:                              ;   in Loop: Header=BB4_3 Depth=1
	v_or_b32_e32 v53, 0x10000, v54
	v_cmp_eq_u32_sdwa s[0:1], v54, v35 src0_sel:WORD_0 src1_sel:DWORD
	v_cndmask_b32_e64 v53, v53, v54, s[0:1]
; %bb.107:                              ;   in Loop: Header=BB4_3 Depth=1
	s_or_b64 exec, exec, s[26:27]
	v_and_b32_e32 v25, 0xffff0000, v25
	v_fma_f32 v54, v25, v51, v52
	v_and_b32_e32 v25, 0x7f800000, v54
	v_cmp_ne_u32_e64 s[0:1], s6, v25
                                        ; implicit-def: $vgpr25
	s_and_saveexec_b64 s[26:27], s[0:1]
	s_xor_b64 s[0:1], exec, s[26:27]
; %bb.108:                              ;   in Loop: Header=BB4_3 Depth=1
	v_bfe_u32 v25, v54, 16, 1
	v_add3_u32 v25, v54, v25, s30
                                        ; implicit-def: $vgpr54
; %bb.109:                              ;   in Loop: Header=BB4_3 Depth=1
	s_andn2_saveexec_b64 s[26:27], s[0:1]
; %bb.110:                              ;   in Loop: Header=BB4_3 Depth=1
	v_or_b32_e32 v25, 0x10000, v54
	v_cmp_eq_u32_sdwa s[0:1], v54, v35 src0_sel:WORD_0 src1_sel:DWORD
	v_cndmask_b32_e64 v25, v25, v54, s[0:1]
; %bb.111:                              ;   in Loop: Header=BB4_3 Depth=1
	s_or_b64 exec, exec, s[26:27]
	v_and_b32_e32 v45, 0xffff0000, v45
	v_fma_f32 v54, v45, v51, v52
	v_and_b32_e32 v45, 0x7f800000, v54
	v_cmp_ne_u32_e64 s[0:1], s6, v45
                                        ; implicit-def: $vgpr45
	s_and_saveexec_b64 s[26:27], s[0:1]
	s_xor_b64 s[0:1], exec, s[26:27]
; %bb.112:                              ;   in Loop: Header=BB4_3 Depth=1
	v_bfe_u32 v45, v54, 16, 1
	v_add3_u32 v45, v54, v45, s30
                                        ; implicit-def: $vgpr54
; %bb.113:                              ;   in Loop: Header=BB4_3 Depth=1
	s_andn2_saveexec_b64 s[26:27], s[0:1]
; %bb.114:                              ;   in Loop: Header=BB4_3 Depth=1
	v_or_b32_e32 v45, 0x10000, v54
	v_cmp_eq_u32_sdwa s[0:1], v54, v35 src0_sel:WORD_0 src1_sel:DWORD
	v_cndmask_b32_e64 v45, v45, v54, s[0:1]
; %bb.115:                              ;   in Loop: Header=BB4_3 Depth=1
	s_or_b64 exec, exec, s[26:27]
	v_and_b32_e32 v46, 0xffff0000, v46
	v_fma_f32 v54, v46, v51, v52
	v_and_b32_e32 v46, 0x7f800000, v54
	v_cmp_ne_u32_e64 s[0:1], s6, v46
                                        ; implicit-def: $vgpr46
	s_and_saveexec_b64 s[26:27], s[0:1]
	s_xor_b64 s[0:1], exec, s[26:27]
; %bb.116:                              ;   in Loop: Header=BB4_3 Depth=1
	v_bfe_u32 v46, v54, 16, 1
	v_add3_u32 v46, v54, v46, s30
                                        ; implicit-def: $vgpr54
; %bb.117:                              ;   in Loop: Header=BB4_3 Depth=1
	s_andn2_saveexec_b64 s[26:27], s[0:1]
; %bb.118:                              ;   in Loop: Header=BB4_3 Depth=1
	v_or_b32_e32 v46, 0x10000, v54
	v_cmp_eq_u32_sdwa s[0:1], v54, v35 src0_sel:WORD_0 src1_sel:DWORD
	v_cndmask_b32_e64 v46, v46, v54, s[0:1]
; %bb.119:                              ;   in Loop: Header=BB4_3 Depth=1
	s_or_b64 exec, exec, s[26:27]
	v_and_b32_e32 v47, 0xffff0000, v47
	v_fma_f32 v54, v47, v51, v52
	v_and_b32_e32 v47, 0x7f800000, v54
	v_cmp_ne_u32_e64 s[0:1], s6, v47
                                        ; implicit-def: $vgpr47
	s_and_saveexec_b64 s[26:27], s[0:1]
	s_xor_b64 s[0:1], exec, s[26:27]
; %bb.120:                              ;   in Loop: Header=BB4_3 Depth=1
	v_bfe_u32 v47, v54, 16, 1
	v_add3_u32 v47, v54, v47, s30
                                        ; implicit-def: $vgpr54
; %bb.121:                              ;   in Loop: Header=BB4_3 Depth=1
	s_andn2_saveexec_b64 s[26:27], s[0:1]
; %bb.122:                              ;   in Loop: Header=BB4_3 Depth=1
	v_or_b32_e32 v47, 0x10000, v54
	v_cmp_eq_u32_sdwa s[0:1], v54, v35 src0_sel:WORD_0 src1_sel:DWORD
	v_cndmask_b32_e64 v47, v47, v54, s[0:1]
; %bb.123:                              ;   in Loop: Header=BB4_3 Depth=1
	s_or_b64 exec, exec, s[26:27]
	v_and_b32_e32 v48, 0xffff0000, v48
	v_fma_f32 v54, v48, v51, v52
	v_and_b32_e32 v48, 0x7f800000, v54
	v_cmp_ne_u32_e64 s[0:1], s6, v48
                                        ; implicit-def: $vgpr48
	s_and_saveexec_b64 s[26:27], s[0:1]
	s_xor_b64 s[0:1], exec, s[26:27]
; %bb.124:                              ;   in Loop: Header=BB4_3 Depth=1
	v_bfe_u32 v48, v54, 16, 1
	v_add3_u32 v48, v54, v48, s30
                                        ; implicit-def: $vgpr54
; %bb.125:                              ;   in Loop: Header=BB4_3 Depth=1
	s_andn2_saveexec_b64 s[26:27], s[0:1]
; %bb.126:                              ;   in Loop: Header=BB4_3 Depth=1
	v_or_b32_e32 v48, 0x10000, v54
	v_cmp_eq_u32_sdwa s[0:1], v54, v35 src0_sel:WORD_0 src1_sel:DWORD
	v_cndmask_b32_e64 v48, v48, v54, s[0:1]
; %bb.127:                              ;   in Loop: Header=BB4_3 Depth=1
	s_or_b64 exec, exec, s[26:27]
	v_and_b32_e32 v49, 0xffff0000, v49
	v_fma_f32 v54, v49, v51, v52
	v_and_b32_e32 v49, 0x7f800000, v54
	v_cmp_ne_u32_e64 s[0:1], s6, v49
                                        ; implicit-def: $vgpr49
	s_and_saveexec_b64 s[26:27], s[0:1]
	s_xor_b64 s[0:1], exec, s[26:27]
; %bb.128:                              ;   in Loop: Header=BB4_3 Depth=1
	v_bfe_u32 v49, v54, 16, 1
	v_add3_u32 v49, v54, v49, s30
                                        ; implicit-def: $vgpr54
; %bb.129:                              ;   in Loop: Header=BB4_3 Depth=1
	s_andn2_saveexec_b64 s[26:27], s[0:1]
; %bb.130:                              ;   in Loop: Header=BB4_3 Depth=1
	v_or_b32_e32 v49, 0x10000, v54
	v_cmp_eq_u32_sdwa s[0:1], v54, v35 src0_sel:WORD_0 src1_sel:DWORD
	v_cndmask_b32_e64 v49, v49, v54, s[0:1]
; %bb.131:                              ;   in Loop: Header=BB4_3 Depth=1
	s_or_b64 exec, exec, s[26:27]
	v_and_b32_e32 v50, 0xffff0000, v50
	v_fma_f32 v54, v50, v51, v52
	v_and_b32_e32 v50, 0x7f800000, v54
	v_cmp_ne_u32_e64 s[0:1], s6, v50
                                        ; implicit-def: $vgpr50
	s_and_saveexec_b64 s[26:27], s[0:1]
	s_xor_b64 s[0:1], exec, s[26:27]
; %bb.132:                              ;   in Loop: Header=BB4_3 Depth=1
	v_bfe_u32 v50, v54, 16, 1
	v_add3_u32 v50, v54, v50, s30
                                        ; implicit-def: $vgpr54
; %bb.133:                              ;   in Loop: Header=BB4_3 Depth=1
	s_andn2_saveexec_b64 s[26:27], s[0:1]
; %bb.134:                              ;   in Loop: Header=BB4_3 Depth=1
	v_or_b32_e32 v50, 0x10000, v54
	v_cmp_eq_u32_sdwa s[0:1], v54, v35 src0_sel:WORD_0 src1_sel:DWORD
	v_cndmask_b32_e64 v50, v50, v54, s[0:1]
; %bb.135:                              ;   in Loop: Header=BB4_3 Depth=1
	s_or_b64 exec, exec, s[26:27]
	v_and_b32_e32 v53, 0xffff0000, v53
	v_fmac_f32_e32 v52, v53, v51
	v_and_b32_e32 v51, 0x7f800000, v52
	v_cmp_ne_u32_e64 s[0:1], s6, v51
                                        ; implicit-def: $vgpr51
	s_and_saveexec_b64 s[26:27], s[0:1]
	s_xor_b64 s[0:1], exec, s[26:27]
; %bb.136:                              ;   in Loop: Header=BB4_3 Depth=1
	v_bfe_u32 v51, v52, 16, 1
	v_add3_u32 v51, v52, v51, s30
                                        ; implicit-def: $vgpr52
; %bb.137:                              ;   in Loop: Header=BB4_3 Depth=1
	s_andn2_saveexec_b64 s[26:27], s[0:1]
; %bb.138:                              ;   in Loop: Header=BB4_3 Depth=1
	v_or_b32_e32 v51, 0x10000, v52
	v_cmp_eq_u32_sdwa s[0:1], v52, v35 src0_sel:WORD_0 src1_sel:DWORD
	v_cndmask_b32_e64 v51, v51, v52, s[0:1]
; %bb.139:                              ;   in Loop: Header=BB4_3 Depth=1
	s_or_b64 exec, exec, s[26:27]
	v_lshrrev_b32_e32 v52, 4, v22
	;;#ASMSTART
	v_and_or_b32 v53, v22, v36, v37
	;;#ASMEND
	;;#ASMSTART
	v_and_or_b32 v56, v52, v36, v37
	;;#ASMEND
	v_lshrrev_b32_e32 v52, 8, v22
	v_lshrrev_b32_e32 v22, 12, v22
	;;#ASMSTART
	v_and_or_b32 v54, v52, v36, v37
	;;#ASMEND
	;;#ASMSTART
	v_and_or_b32 v52, v22, v36, v37
	;;#ASMEND
	v_lshlrev_b32_e32 v22, 16, v53
	v_add_f32_e32 v55, 0xc3080000, v22
	v_and_b32_e32 v22, 0x7f800000, v55
	v_cmp_ne_u32_e64 s[0:1], s6, v22
                                        ; implicit-def: $vgpr22
	s_and_saveexec_b64 s[26:27], s[0:1]
	s_xor_b64 s[0:1], exec, s[26:27]
; %bb.140:                              ;   in Loop: Header=BB4_3 Depth=1
	v_bfe_u32 v22, v55, 16, 1
	v_add3_u32 v22, v55, v22, s30
                                        ; implicit-def: $vgpr55
; %bb.141:                              ;   in Loop: Header=BB4_3 Depth=1
	s_andn2_saveexec_b64 s[26:27], s[0:1]
; %bb.142:                              ;   in Loop: Header=BB4_3 Depth=1
	v_or_b32_e32 v22, 0x10000, v55
	v_cmp_eq_u32_sdwa s[0:1], v55, v35 src0_sel:WORD_0 src1_sel:DWORD
	v_cndmask_b32_e64 v22, v22, v55, s[0:1]
; %bb.143:                              ;   in Loop: Header=BB4_3 Depth=1
	s_or_b64 exec, exec, s[26:27]
	v_and_b32_e32 v53, 0xffff0000, v53
	v_add_f32_e32 v55, 0xc3080000, v53
	v_and_b32_e32 v53, 0x7f800000, v55
	v_cmp_ne_u32_e64 s[0:1], s6, v53
                                        ; implicit-def: $vgpr53
	s_and_saveexec_b64 s[26:27], s[0:1]
	s_xor_b64 s[0:1], exec, s[26:27]
; %bb.144:                              ;   in Loop: Header=BB4_3 Depth=1
	v_bfe_u32 v53, v55, 16, 1
	v_add3_u32 v53, v55, v53, s30
                                        ; implicit-def: $vgpr55
; %bb.145:                              ;   in Loop: Header=BB4_3 Depth=1
	s_andn2_saveexec_b64 s[26:27], s[0:1]
; %bb.146:                              ;   in Loop: Header=BB4_3 Depth=1
	v_or_b32_e32 v53, 0x10000, v55
	v_cmp_eq_u32_sdwa s[0:1], v55, v35 src0_sel:WORD_0 src1_sel:DWORD
	v_cndmask_b32_e64 v53, v53, v55, s[0:1]
; %bb.147:                              ;   in Loop: Header=BB4_3 Depth=1
	s_or_b64 exec, exec, s[26:27]
	v_lshlrev_b32_e32 v55, 16, v56
	v_add_f32_e32 v57, 0xc3080000, v55
	v_and_b32_e32 v55, 0x7f800000, v57
	v_cmp_ne_u32_e64 s[0:1], s6, v55
                                        ; implicit-def: $vgpr55
	s_and_saveexec_b64 s[26:27], s[0:1]
	s_xor_b64 s[0:1], exec, s[26:27]
; %bb.148:                              ;   in Loop: Header=BB4_3 Depth=1
	v_bfe_u32 v55, v57, 16, 1
	v_add3_u32 v55, v57, v55, s30
                                        ; implicit-def: $vgpr57
; %bb.149:                              ;   in Loop: Header=BB4_3 Depth=1
	s_andn2_saveexec_b64 s[26:27], s[0:1]
; %bb.150:                              ;   in Loop: Header=BB4_3 Depth=1
	v_or_b32_e32 v55, 0x10000, v57
	v_cmp_eq_u32_sdwa s[0:1], v57, v35 src0_sel:WORD_0 src1_sel:DWORD
	v_cndmask_b32_e64 v55, v55, v57, s[0:1]
; %bb.151:                              ;   in Loop: Header=BB4_3 Depth=1
	s_or_b64 exec, exec, s[26:27]
	v_and_b32_e32 v56, 0xffff0000, v56
	v_add_f32_e32 v57, 0xc3080000, v56
	v_and_b32_e32 v56, 0x7f800000, v57
	v_cmp_ne_u32_e64 s[0:1], s6, v56
                                        ; implicit-def: $vgpr56
	s_and_saveexec_b64 s[26:27], s[0:1]
	s_xor_b64 s[0:1], exec, s[26:27]
; %bb.152:                              ;   in Loop: Header=BB4_3 Depth=1
	v_bfe_u32 v56, v57, 16, 1
	v_add3_u32 v56, v57, v56, s30
                                        ; implicit-def: $vgpr57
; %bb.153:                              ;   in Loop: Header=BB4_3 Depth=1
	s_andn2_saveexec_b64 s[26:27], s[0:1]
; %bb.154:                              ;   in Loop: Header=BB4_3 Depth=1
	v_or_b32_e32 v56, 0x10000, v57
	v_cmp_eq_u32_sdwa s[0:1], v57, v35 src0_sel:WORD_0 src1_sel:DWORD
	v_cndmask_b32_e64 v56, v56, v57, s[0:1]
; %bb.155:                              ;   in Loop: Header=BB4_3 Depth=1
	s_or_b64 exec, exec, s[26:27]
	v_lshlrev_b32_e32 v57, 16, v54
	v_add_f32_e32 v58, 0xc3080000, v57
	v_and_b32_e32 v57, 0x7f800000, v58
	v_cmp_ne_u32_e64 s[0:1], s6, v57
                                        ; implicit-def: $vgpr57
	s_and_saveexec_b64 s[26:27], s[0:1]
	s_xor_b64 s[0:1], exec, s[26:27]
; %bb.156:                              ;   in Loop: Header=BB4_3 Depth=1
	v_bfe_u32 v57, v58, 16, 1
	v_add3_u32 v57, v58, v57, s30
                                        ; implicit-def: $vgpr58
; %bb.157:                              ;   in Loop: Header=BB4_3 Depth=1
	s_andn2_saveexec_b64 s[26:27], s[0:1]
; %bb.158:                              ;   in Loop: Header=BB4_3 Depth=1
	v_or_b32_e32 v57, 0x10000, v58
	v_cmp_eq_u32_sdwa s[0:1], v58, v35 src0_sel:WORD_0 src1_sel:DWORD
	v_cndmask_b32_e64 v57, v57, v58, s[0:1]
; %bb.159:                              ;   in Loop: Header=BB4_3 Depth=1
	s_or_b64 exec, exec, s[26:27]
	v_and_b32_e32 v54, 0xffff0000, v54
	v_add_f32_e32 v54, 0xc3080000, v54
	v_and_b32_e32 v58, 0x7f800000, v54
	v_cmp_ne_u32_e64 s[0:1], s6, v58
                                        ; implicit-def: $vgpr58
	s_and_saveexec_b64 s[26:27], s[0:1]
	s_xor_b64 s[0:1], exec, s[26:27]
; %bb.160:                              ;   in Loop: Header=BB4_3 Depth=1
	v_bfe_u32 v58, v54, 16, 1
	v_add3_u32 v58, v54, v58, s30
                                        ; implicit-def: $vgpr54
; %bb.161:                              ;   in Loop: Header=BB4_3 Depth=1
	s_andn2_saveexec_b64 s[26:27], s[0:1]
; %bb.162:                              ;   in Loop: Header=BB4_3 Depth=1
	v_or_b32_e32 v58, 0x10000, v54
	v_cmp_eq_u32_sdwa s[0:1], v54, v35 src0_sel:WORD_0 src1_sel:DWORD
	v_cndmask_b32_e64 v58, v58, v54, s[0:1]
; %bb.163:                              ;   in Loop: Header=BB4_3 Depth=1
	s_or_b64 exec, exec, s[26:27]
	v_lshlrev_b32_e32 v54, 16, v52
	v_add_f32_e32 v54, 0xc3080000, v54
	v_and_b32_e32 v59, 0x7f800000, v54
	v_cmp_ne_u32_e64 s[0:1], s6, v59
                                        ; implicit-def: $vgpr59
	s_and_saveexec_b64 s[26:27], s[0:1]
	s_xor_b64 s[0:1], exec, s[26:27]
; %bb.164:                              ;   in Loop: Header=BB4_3 Depth=1
	v_bfe_u32 v59, v54, 16, 1
	v_add3_u32 v59, v54, v59, s30
                                        ; implicit-def: $vgpr54
; %bb.165:                              ;   in Loop: Header=BB4_3 Depth=1
	s_andn2_saveexec_b64 s[26:27], s[0:1]
; %bb.166:                              ;   in Loop: Header=BB4_3 Depth=1
	v_or_b32_e32 v59, 0x10000, v54
	v_cmp_eq_u32_sdwa s[0:1], v54, v35 src0_sel:WORD_0 src1_sel:DWORD
	v_cndmask_b32_e64 v59, v59, v54, s[0:1]
; %bb.167:                              ;   in Loop: Header=BB4_3 Depth=1
	s_or_b64 exec, exec, s[26:27]
	v_and_b32_e32 v52, 0xffff0000, v52
	v_add_f32_e32 v52, 0xc3080000, v52
	v_and_b32_e32 v54, 0x7f800000, v52
	v_cmp_ne_u32_e64 s[0:1], s6, v54
                                        ; implicit-def: $vgpr60
	s_and_saveexec_b64 s[26:27], s[0:1]
	s_xor_b64 s[0:1], exec, s[26:27]
; %bb.168:                              ;   in Loop: Header=BB4_3 Depth=1
	v_bfe_u32 v54, v52, 16, 1
	v_add3_u32 v60, v52, v54, s30
                                        ; implicit-def: $vgpr52
; %bb.169:                              ;   in Loop: Header=BB4_3 Depth=1
	s_andn2_saveexec_b64 s[26:27], s[0:1]
; %bb.170:                              ;   in Loop: Header=BB4_3 Depth=1
	v_or_b32_e32 v54, 0x10000, v52
	v_cmp_eq_u32_sdwa s[0:1], v52, v35 src0_sel:WORD_0 src1_sel:DWORD
	v_cndmask_b32_e64 v60, v54, v52, s[0:1]
; %bb.171:                              ;   in Loop: Header=BB4_3 Depth=1
	s_or_b64 exec, exec, s[26:27]
	v_and_b32_e32 v22, 0xffff0000, v22
	s_waitcnt vmcnt(0)
	v_lshlrev_b32_e32 v54, 16, v44
	v_and_b32_e32 v52, 0xffff0000, v44
	v_fma_f32 v44, v22, v54, v52
	v_and_b32_e32 v22, 0x7f800000, v44
	v_cmp_ne_u32_e64 s[0:1], s6, v22
                                        ; implicit-def: $vgpr22
	s_and_saveexec_b64 s[26:27], s[0:1]
	s_xor_b64 s[0:1], exec, s[26:27]
; %bb.172:                              ;   in Loop: Header=BB4_3 Depth=1
	v_bfe_u32 v22, v44, 16, 1
	v_add3_u32 v22, v44, v22, s30
                                        ; implicit-def: $vgpr44
; %bb.173:                              ;   in Loop: Header=BB4_3 Depth=1
	s_andn2_saveexec_b64 s[26:27], s[0:1]
; %bb.174:                              ;   in Loop: Header=BB4_3 Depth=1
	v_or_b32_e32 v22, 0x10000, v44
	v_cmp_eq_u32_sdwa s[0:1], v44, v35 src0_sel:WORD_0 src1_sel:DWORD
	v_cndmask_b32_e64 v22, v22, v44, s[0:1]
; %bb.175:                              ;   in Loop: Header=BB4_3 Depth=1
	s_or_b64 exec, exec, s[26:27]
	v_and_b32_e32 v44, 0xffff0000, v53
	v_fma_f32 v53, v44, v54, v52
	v_and_b32_e32 v44, 0x7f800000, v53
	v_cmp_ne_u32_e64 s[0:1], s6, v44
                                        ; implicit-def: $vgpr44
	s_and_saveexec_b64 s[26:27], s[0:1]
	s_xor_b64 s[0:1], exec, s[26:27]
; %bb.176:                              ;   in Loop: Header=BB4_3 Depth=1
	v_bfe_u32 v44, v53, 16, 1
	v_add3_u32 v44, v53, v44, s30
                                        ; implicit-def: $vgpr53
; %bb.177:                              ;   in Loop: Header=BB4_3 Depth=1
	s_andn2_saveexec_b64 s[26:27], s[0:1]
; %bb.178:                              ;   in Loop: Header=BB4_3 Depth=1
	v_or_b32_e32 v44, 0x10000, v53
	v_cmp_eq_u32_sdwa s[0:1], v53, v35 src0_sel:WORD_0 src1_sel:DWORD
	v_cndmask_b32_e64 v44, v44, v53, s[0:1]
; %bb.179:                              ;   in Loop: Header=BB4_3 Depth=1
	s_or_b64 exec, exec, s[26:27]
	v_and_b32_e32 v53, 0xffff0000, v55
	v_fma_f32 v55, v53, v54, v52
	v_and_b32_e32 v53, 0x7f800000, v55
	v_cmp_ne_u32_e64 s[0:1], s6, v53
                                        ; implicit-def: $vgpr53
	s_and_saveexec_b64 s[26:27], s[0:1]
	s_xor_b64 s[0:1], exec, s[26:27]
; %bb.180:                              ;   in Loop: Header=BB4_3 Depth=1
	v_bfe_u32 v53, v55, 16, 1
	v_add3_u32 v53, v55, v53, s30
                                        ; implicit-def: $vgpr55
; %bb.181:                              ;   in Loop: Header=BB4_3 Depth=1
	s_andn2_saveexec_b64 s[26:27], s[0:1]
; %bb.182:                              ;   in Loop: Header=BB4_3 Depth=1
	v_or_b32_e32 v53, 0x10000, v55
	v_cmp_eq_u32_sdwa s[0:1], v55, v35 src0_sel:WORD_0 src1_sel:DWORD
	v_cndmask_b32_e64 v53, v53, v55, s[0:1]
; %bb.183:                              ;   in Loop: Header=BB4_3 Depth=1
	s_or_b64 exec, exec, s[26:27]
	v_and_b32_e32 v55, 0xffff0000, v56
	v_fma_f32 v56, v55, v54, v52
	v_and_b32_e32 v55, 0x7f800000, v56
	v_cmp_ne_u32_e64 s[0:1], s6, v55
                                        ; implicit-def: $vgpr55
	s_and_saveexec_b64 s[26:27], s[0:1]
	s_xor_b64 s[0:1], exec, s[26:27]
; %bb.184:                              ;   in Loop: Header=BB4_3 Depth=1
	v_bfe_u32 v55, v56, 16, 1
	v_add3_u32 v55, v56, v55, s30
                                        ; implicit-def: $vgpr56
; %bb.185:                              ;   in Loop: Header=BB4_3 Depth=1
	s_andn2_saveexec_b64 s[26:27], s[0:1]
; %bb.186:                              ;   in Loop: Header=BB4_3 Depth=1
	v_or_b32_e32 v55, 0x10000, v56
	v_cmp_eq_u32_sdwa s[0:1], v56, v35 src0_sel:WORD_0 src1_sel:DWORD
	v_cndmask_b32_e64 v55, v55, v56, s[0:1]
; %bb.187:                              ;   in Loop: Header=BB4_3 Depth=1
	s_or_b64 exec, exec, s[26:27]
	v_and_b32_e32 v56, 0xffff0000, v57
	v_fma_f32 v57, v56, v54, v52
	v_and_b32_e32 v56, 0x7f800000, v57
	v_cmp_ne_u32_e64 s[0:1], s6, v56
                                        ; implicit-def: $vgpr56
	s_and_saveexec_b64 s[26:27], s[0:1]
	s_xor_b64 s[0:1], exec, s[26:27]
; %bb.188:                              ;   in Loop: Header=BB4_3 Depth=1
	v_bfe_u32 v56, v57, 16, 1
	v_add3_u32 v56, v57, v56, s30
                                        ; implicit-def: $vgpr57
; %bb.189:                              ;   in Loop: Header=BB4_3 Depth=1
	s_andn2_saveexec_b64 s[26:27], s[0:1]
; %bb.190:                              ;   in Loop: Header=BB4_3 Depth=1
	v_or_b32_e32 v56, 0x10000, v57
	v_cmp_eq_u32_sdwa s[0:1], v57, v35 src0_sel:WORD_0 src1_sel:DWORD
	v_cndmask_b32_e64 v56, v56, v57, s[0:1]
; %bb.191:                              ;   in Loop: Header=BB4_3 Depth=1
	s_or_b64 exec, exec, s[26:27]
	v_and_b32_e32 v57, 0xffff0000, v58
	v_fma_f32 v58, v57, v54, v52
	v_and_b32_e32 v57, 0x7f800000, v58
	v_cmp_ne_u32_e64 s[0:1], s6, v57
                                        ; implicit-def: $vgpr57
	s_and_saveexec_b64 s[26:27], s[0:1]
	s_xor_b64 s[0:1], exec, s[26:27]
; %bb.192:                              ;   in Loop: Header=BB4_3 Depth=1
	v_bfe_u32 v57, v58, 16, 1
	v_add3_u32 v57, v58, v57, s30
                                        ; implicit-def: $vgpr58
; %bb.193:                              ;   in Loop: Header=BB4_3 Depth=1
	s_andn2_saveexec_b64 s[26:27], s[0:1]
; %bb.194:                              ;   in Loop: Header=BB4_3 Depth=1
	v_or_b32_e32 v57, 0x10000, v58
	v_cmp_eq_u32_sdwa s[0:1], v58, v35 src0_sel:WORD_0 src1_sel:DWORD
	v_cndmask_b32_e64 v57, v57, v58, s[0:1]
; %bb.195:                              ;   in Loop: Header=BB4_3 Depth=1
	s_or_b64 exec, exec, s[26:27]
	v_and_b32_e32 v58, 0xffff0000, v59
	v_fma_f32 v59, v58, v54, v52
	v_and_b32_e32 v58, 0x7f800000, v59
	v_cmp_ne_u32_e64 s[0:1], s6, v58
                                        ; implicit-def: $vgpr58
	s_and_saveexec_b64 s[26:27], s[0:1]
	s_xor_b64 s[0:1], exec, s[26:27]
; %bb.196:                              ;   in Loop: Header=BB4_3 Depth=1
	v_bfe_u32 v58, v59, 16, 1
	v_add3_u32 v58, v59, v58, s30
                                        ; implicit-def: $vgpr59
; %bb.197:                              ;   in Loop: Header=BB4_3 Depth=1
	s_andn2_saveexec_b64 s[26:27], s[0:1]
; %bb.198:                              ;   in Loop: Header=BB4_3 Depth=1
	v_or_b32_e32 v58, 0x10000, v59
	v_cmp_eq_u32_sdwa s[0:1], v59, v35 src0_sel:WORD_0 src1_sel:DWORD
	v_cndmask_b32_e64 v58, v58, v59, s[0:1]
; %bb.199:                              ;   in Loop: Header=BB4_3 Depth=1
	s_or_b64 exec, exec, s[26:27]
	v_and_b32_e32 v59, 0xffff0000, v60
	v_fma_f32 v60, v59, v54, v52
	v_and_b32_e32 v59, 0x7f800000, v60
	v_cmp_ne_u32_e64 s[0:1], s6, v59
                                        ; implicit-def: $vgpr59
	s_and_saveexec_b64 s[26:27], s[0:1]
	s_xor_b64 s[0:1], exec, s[26:27]
; %bb.200:                              ;   in Loop: Header=BB4_3 Depth=1
	v_bfe_u32 v59, v60, 16, 1
	v_add3_u32 v59, v60, v59, s30
                                        ; implicit-def: $vgpr60
; %bb.201:                              ;   in Loop: Header=BB4_3 Depth=1
	s_andn2_saveexec_b64 s[26:27], s[0:1]
; %bb.202:                              ;   in Loop: Header=BB4_3 Depth=1
	v_or_b32_e32 v59, 0x10000, v60
	v_cmp_eq_u32_sdwa s[0:1], v60, v35 src0_sel:WORD_0 src1_sel:DWORD
	v_cndmask_b32_e64 v59, v59, v60, s[0:1]
; %bb.203:                              ;   in Loop: Header=BB4_3 Depth=1
	s_or_b64 exec, exec, s[26:27]
	v_lshrrev_b32_e32 v61, 4, v23
	;;#ASMSTART
	v_and_or_b32 v60, v23, v36, v37
	;;#ASMEND
	;;#ASMSTART
	v_and_or_b32 v62, v61, v36, v37
	;;#ASMEND
	v_lshrrev_b32_e32 v61, 8, v23
	v_lshrrev_b32_e32 v23, 12, v23
	;;#ASMSTART
	v_and_or_b32 v64, v61, v36, v37
	;;#ASMEND
	;;#ASMSTART
	v_and_or_b32 v66, v23, v36, v37
	;;#ASMEND
	v_lshlrev_b32_e32 v23, 16, v60
	v_add_f32_e32 v61, 0xc3080000, v23
	v_and_b32_e32 v23, 0x7f800000, v61
	v_cmp_ne_u32_e64 s[0:1], s6, v23
                                        ; implicit-def: $vgpr23
	s_and_saveexec_b64 s[26:27], s[0:1]
	s_xor_b64 s[0:1], exec, s[26:27]
; %bb.204:                              ;   in Loop: Header=BB4_3 Depth=1
	v_bfe_u32 v23, v61, 16, 1
	v_add3_u32 v23, v61, v23, s30
                                        ; implicit-def: $vgpr61
; %bb.205:                              ;   in Loop: Header=BB4_3 Depth=1
	s_andn2_saveexec_b64 s[26:27], s[0:1]
; %bb.206:                              ;   in Loop: Header=BB4_3 Depth=1
	v_or_b32_e32 v23, 0x10000, v61
	v_cmp_eq_u32_sdwa s[0:1], v61, v35 src0_sel:WORD_0 src1_sel:DWORD
	v_cndmask_b32_e64 v23, v23, v61, s[0:1]
; %bb.207:                              ;   in Loop: Header=BB4_3 Depth=1
	s_or_b64 exec, exec, s[26:27]
	v_and_b32_e32 v60, 0xffff0000, v60
	v_add_f32_e32 v61, 0xc3080000, v60
	v_and_b32_e32 v60, 0x7f800000, v61
	v_cmp_ne_u32_e64 s[0:1], s6, v60
                                        ; implicit-def: $vgpr60
	s_and_saveexec_b64 s[26:27], s[0:1]
	s_xor_b64 s[0:1], exec, s[26:27]
; %bb.208:                              ;   in Loop: Header=BB4_3 Depth=1
	v_bfe_u32 v60, v61, 16, 1
	v_add3_u32 v60, v61, v60, s30
                                        ; implicit-def: $vgpr61
; %bb.209:                              ;   in Loop: Header=BB4_3 Depth=1
	s_andn2_saveexec_b64 s[26:27], s[0:1]
; %bb.210:                              ;   in Loop: Header=BB4_3 Depth=1
	v_or_b32_e32 v60, 0x10000, v61
	v_cmp_eq_u32_sdwa s[0:1], v61, v35 src0_sel:WORD_0 src1_sel:DWORD
	v_cndmask_b32_e64 v60, v60, v61, s[0:1]
; %bb.211:                              ;   in Loop: Header=BB4_3 Depth=1
	s_or_b64 exec, exec, s[26:27]
	v_lshlrev_b32_e32 v61, 16, v62
	v_add_f32_e32 v63, 0xc3080000, v61
	v_and_b32_e32 v61, 0x7f800000, v63
	v_cmp_ne_u32_e64 s[0:1], s6, v61
                                        ; implicit-def: $vgpr61
	s_and_saveexec_b64 s[26:27], s[0:1]
	s_xor_b64 s[0:1], exec, s[26:27]
; %bb.212:                              ;   in Loop: Header=BB4_3 Depth=1
	v_bfe_u32 v61, v63, 16, 1
	v_add3_u32 v61, v63, v61, s30
                                        ; implicit-def: $vgpr63
; %bb.213:                              ;   in Loop: Header=BB4_3 Depth=1
	s_andn2_saveexec_b64 s[26:27], s[0:1]
; %bb.214:                              ;   in Loop: Header=BB4_3 Depth=1
	v_or_b32_e32 v61, 0x10000, v63
	v_cmp_eq_u32_sdwa s[0:1], v63, v35 src0_sel:WORD_0 src1_sel:DWORD
	v_cndmask_b32_e64 v61, v61, v63, s[0:1]
; %bb.215:                              ;   in Loop: Header=BB4_3 Depth=1
	s_or_b64 exec, exec, s[26:27]
	v_and_b32_e32 v62, 0xffff0000, v62
	v_add_f32_e32 v63, 0xc3080000, v62
	v_and_b32_e32 v62, 0x7f800000, v63
	v_cmp_ne_u32_e64 s[0:1], s6, v62
                                        ; implicit-def: $vgpr62
	s_and_saveexec_b64 s[26:27], s[0:1]
	s_xor_b64 s[0:1], exec, s[26:27]
; %bb.216:                              ;   in Loop: Header=BB4_3 Depth=1
	v_bfe_u32 v62, v63, 16, 1
	v_add3_u32 v62, v63, v62, s30
                                        ; implicit-def: $vgpr63
; %bb.217:                              ;   in Loop: Header=BB4_3 Depth=1
	s_andn2_saveexec_b64 s[26:27], s[0:1]
; %bb.218:                              ;   in Loop: Header=BB4_3 Depth=1
	v_or_b32_e32 v62, 0x10000, v63
	v_cmp_eq_u32_sdwa s[0:1], v63, v35 src0_sel:WORD_0 src1_sel:DWORD
	v_cndmask_b32_e64 v62, v62, v63, s[0:1]
; %bb.219:                              ;   in Loop: Header=BB4_3 Depth=1
	s_or_b64 exec, exec, s[26:27]
	v_lshlrev_b32_e32 v63, 16, v64
	v_add_f32_e32 v65, 0xc3080000, v63
	v_and_b32_e32 v63, 0x7f800000, v65
	v_cmp_ne_u32_e64 s[0:1], s6, v63
                                        ; implicit-def: $vgpr63
	s_and_saveexec_b64 s[26:27], s[0:1]
	s_xor_b64 s[0:1], exec, s[26:27]
; %bb.220:                              ;   in Loop: Header=BB4_3 Depth=1
	v_bfe_u32 v63, v65, 16, 1
	v_add3_u32 v63, v65, v63, s30
                                        ; implicit-def: $vgpr65
; %bb.221:                              ;   in Loop: Header=BB4_3 Depth=1
	s_andn2_saveexec_b64 s[26:27], s[0:1]
; %bb.222:                              ;   in Loop: Header=BB4_3 Depth=1
	v_or_b32_e32 v63, 0x10000, v65
	v_cmp_eq_u32_sdwa s[0:1], v65, v35 src0_sel:WORD_0 src1_sel:DWORD
	v_cndmask_b32_e64 v63, v63, v65, s[0:1]
; %bb.223:                              ;   in Loop: Header=BB4_3 Depth=1
	s_or_b64 exec, exec, s[26:27]
	v_and_b32_e32 v64, 0xffff0000, v64
	v_add_f32_e32 v65, 0xc3080000, v64
	v_and_b32_e32 v64, 0x7f800000, v65
	v_cmp_ne_u32_e64 s[0:1], s6, v64
                                        ; implicit-def: $vgpr64
	s_and_saveexec_b64 s[26:27], s[0:1]
	s_xor_b64 s[0:1], exec, s[26:27]
; %bb.224:                              ;   in Loop: Header=BB4_3 Depth=1
	v_bfe_u32 v64, v65, 16, 1
	v_add3_u32 v64, v65, v64, s30
                                        ; implicit-def: $vgpr65
; %bb.225:                              ;   in Loop: Header=BB4_3 Depth=1
	s_andn2_saveexec_b64 s[26:27], s[0:1]
; %bb.226:                              ;   in Loop: Header=BB4_3 Depth=1
	v_or_b32_e32 v64, 0x10000, v65
	v_cmp_eq_u32_sdwa s[0:1], v65, v35 src0_sel:WORD_0 src1_sel:DWORD
	v_cndmask_b32_e64 v64, v64, v65, s[0:1]
; %bb.227:                              ;   in Loop: Header=BB4_3 Depth=1
	s_or_b64 exec, exec, s[26:27]
	v_lshlrev_b32_e32 v65, 16, v66
	v_add_f32_e32 v67, 0xc3080000, v65
	v_and_b32_e32 v65, 0x7f800000, v67
	v_cmp_ne_u32_e64 s[0:1], s6, v65
                                        ; implicit-def: $vgpr65
	s_and_saveexec_b64 s[26:27], s[0:1]
	s_xor_b64 s[0:1], exec, s[26:27]
; %bb.228:                              ;   in Loop: Header=BB4_3 Depth=1
	v_bfe_u32 v65, v67, 16, 1
	v_add3_u32 v65, v67, v65, s30
                                        ; implicit-def: $vgpr67
; %bb.229:                              ;   in Loop: Header=BB4_3 Depth=1
	s_andn2_saveexec_b64 s[26:27], s[0:1]
; %bb.230:                              ;   in Loop: Header=BB4_3 Depth=1
	v_or_b32_e32 v65, 0x10000, v67
	v_cmp_eq_u32_sdwa s[0:1], v67, v35 src0_sel:WORD_0 src1_sel:DWORD
	v_cndmask_b32_e64 v65, v65, v67, s[0:1]
; %bb.231:                              ;   in Loop: Header=BB4_3 Depth=1
	s_or_b64 exec, exec, s[26:27]
	v_and_b32_e32 v66, 0xffff0000, v66
	v_add_f32_e32 v67, 0xc3080000, v66
	v_and_b32_e32 v66, 0x7f800000, v67
	v_cmp_ne_u32_e64 s[0:1], s6, v66
                                        ; implicit-def: $vgpr66
	s_and_saveexec_b64 s[26:27], s[0:1]
	s_xor_b64 s[0:1], exec, s[26:27]
; %bb.232:                              ;   in Loop: Header=BB4_3 Depth=1
	v_bfe_u32 v66, v67, 16, 1
	v_add3_u32 v66, v67, v66, s30
                                        ; implicit-def: $vgpr67
; %bb.233:                              ;   in Loop: Header=BB4_3 Depth=1
	s_andn2_saveexec_b64 s[26:27], s[0:1]
; %bb.234:                              ;   in Loop: Header=BB4_3 Depth=1
	v_or_b32_e32 v66, 0x10000, v67
	v_cmp_eq_u32_sdwa s[0:1], v67, v35 src0_sel:WORD_0 src1_sel:DWORD
	v_cndmask_b32_e64 v66, v66, v67, s[0:1]
; %bb.235:                              ;   in Loop: Header=BB4_3 Depth=1
	s_or_b64 exec, exec, s[26:27]
	v_and_b32_e32 v23, 0xffff0000, v23
	v_fma_f32 v67, v23, v54, v52
	v_and_b32_e32 v23, 0x7f800000, v67
	v_cmp_ne_u32_e64 s[0:1], s6, v23
                                        ; implicit-def: $vgpr23
	s_and_saveexec_b64 s[26:27], s[0:1]
	s_xor_b64 s[0:1], exec, s[26:27]
; %bb.236:                              ;   in Loop: Header=BB4_3 Depth=1
	v_bfe_u32 v23, v67, 16, 1
	v_add3_u32 v23, v67, v23, s30
                                        ; implicit-def: $vgpr67
; %bb.237:                              ;   in Loop: Header=BB4_3 Depth=1
	s_andn2_saveexec_b64 s[26:27], s[0:1]
; %bb.238:                              ;   in Loop: Header=BB4_3 Depth=1
	v_or_b32_e32 v23, 0x10000, v67
	v_cmp_eq_u32_sdwa s[0:1], v67, v35 src0_sel:WORD_0 src1_sel:DWORD
	v_cndmask_b32_e64 v23, v23, v67, s[0:1]
; %bb.239:                              ;   in Loop: Header=BB4_3 Depth=1
	s_or_b64 exec, exec, s[26:27]
	v_and_b32_e32 v60, 0xffff0000, v60
	v_fma_f32 v67, v60, v54, v52
	v_and_b32_e32 v60, 0x7f800000, v67
	v_cmp_ne_u32_e64 s[0:1], s6, v60
                                        ; implicit-def: $vgpr60
	s_and_saveexec_b64 s[26:27], s[0:1]
	s_xor_b64 s[0:1], exec, s[26:27]
; %bb.240:                              ;   in Loop: Header=BB4_3 Depth=1
	v_bfe_u32 v60, v67, 16, 1
	v_add3_u32 v60, v67, v60, s30
                                        ; implicit-def: $vgpr67
; %bb.241:                              ;   in Loop: Header=BB4_3 Depth=1
	s_andn2_saveexec_b64 s[26:27], s[0:1]
; %bb.242:                              ;   in Loop: Header=BB4_3 Depth=1
	v_or_b32_e32 v60, 0x10000, v67
	v_cmp_eq_u32_sdwa s[0:1], v67, v35 src0_sel:WORD_0 src1_sel:DWORD
	v_cndmask_b32_e64 v60, v60, v67, s[0:1]
; %bb.243:                              ;   in Loop: Header=BB4_3 Depth=1
	s_or_b64 exec, exec, s[26:27]
	v_and_b32_e32 v61, 0xffff0000, v61
	v_fma_f32 v67, v61, v54, v52
	v_and_b32_e32 v61, 0x7f800000, v67
	v_cmp_ne_u32_e64 s[0:1], s6, v61
                                        ; implicit-def: $vgpr61
	s_and_saveexec_b64 s[26:27], s[0:1]
	s_xor_b64 s[0:1], exec, s[26:27]
; %bb.244:                              ;   in Loop: Header=BB4_3 Depth=1
	v_bfe_u32 v61, v67, 16, 1
	v_add3_u32 v61, v67, v61, s30
                                        ; implicit-def: $vgpr67
; %bb.245:                              ;   in Loop: Header=BB4_3 Depth=1
	s_andn2_saveexec_b64 s[26:27], s[0:1]
; %bb.246:                              ;   in Loop: Header=BB4_3 Depth=1
	v_or_b32_e32 v61, 0x10000, v67
	v_cmp_eq_u32_sdwa s[0:1], v67, v35 src0_sel:WORD_0 src1_sel:DWORD
	v_cndmask_b32_e64 v61, v61, v67, s[0:1]
; %bb.247:                              ;   in Loop: Header=BB4_3 Depth=1
	s_or_b64 exec, exec, s[26:27]
	v_and_b32_e32 v62, 0xffff0000, v62
	v_fma_f32 v67, v62, v54, v52
	v_and_b32_e32 v62, 0x7f800000, v67
	v_cmp_ne_u32_e64 s[0:1], s6, v62
                                        ; implicit-def: $vgpr62
	s_and_saveexec_b64 s[26:27], s[0:1]
	s_xor_b64 s[0:1], exec, s[26:27]
; %bb.248:                              ;   in Loop: Header=BB4_3 Depth=1
	v_bfe_u32 v62, v67, 16, 1
	v_add3_u32 v62, v67, v62, s30
                                        ; implicit-def: $vgpr67
; %bb.249:                              ;   in Loop: Header=BB4_3 Depth=1
	s_andn2_saveexec_b64 s[26:27], s[0:1]
; %bb.250:                              ;   in Loop: Header=BB4_3 Depth=1
	v_or_b32_e32 v62, 0x10000, v67
	v_cmp_eq_u32_sdwa s[0:1], v67, v35 src0_sel:WORD_0 src1_sel:DWORD
	v_cndmask_b32_e64 v62, v62, v67, s[0:1]
; %bb.251:                              ;   in Loop: Header=BB4_3 Depth=1
	s_or_b64 exec, exec, s[26:27]
	v_and_b32_e32 v63, 0xffff0000, v63
	v_fma_f32 v67, v63, v54, v52
	v_and_b32_e32 v63, 0x7f800000, v67
	v_cmp_ne_u32_e64 s[0:1], s6, v63
                                        ; implicit-def: $vgpr63
	s_and_saveexec_b64 s[26:27], s[0:1]
	s_xor_b64 s[0:1], exec, s[26:27]
; %bb.252:                              ;   in Loop: Header=BB4_3 Depth=1
	v_bfe_u32 v63, v67, 16, 1
	v_add3_u32 v63, v67, v63, s30
                                        ; implicit-def: $vgpr67
; %bb.253:                              ;   in Loop: Header=BB4_3 Depth=1
	s_andn2_saveexec_b64 s[26:27], s[0:1]
; %bb.254:                              ;   in Loop: Header=BB4_3 Depth=1
	v_or_b32_e32 v63, 0x10000, v67
	v_cmp_eq_u32_sdwa s[0:1], v67, v35 src0_sel:WORD_0 src1_sel:DWORD
	v_cndmask_b32_e64 v63, v63, v67, s[0:1]
; %bb.255:                              ;   in Loop: Header=BB4_3 Depth=1
	s_or_b64 exec, exec, s[26:27]
	v_and_b32_e32 v64, 0xffff0000, v64
	v_fma_f32 v67, v64, v54, v52
	v_and_b32_e32 v64, 0x7f800000, v67
	v_cmp_ne_u32_e64 s[0:1], s6, v64
                                        ; implicit-def: $vgpr64
	s_and_saveexec_b64 s[26:27], s[0:1]
	s_xor_b64 s[0:1], exec, s[26:27]
; %bb.256:                              ;   in Loop: Header=BB4_3 Depth=1
	v_bfe_u32 v64, v67, 16, 1
	v_add3_u32 v64, v67, v64, s30
                                        ; implicit-def: $vgpr67
; %bb.257:                              ;   in Loop: Header=BB4_3 Depth=1
	s_andn2_saveexec_b64 s[26:27], s[0:1]
; %bb.258:                              ;   in Loop: Header=BB4_3 Depth=1
	v_or_b32_e32 v64, 0x10000, v67
	v_cmp_eq_u32_sdwa s[0:1], v67, v35 src0_sel:WORD_0 src1_sel:DWORD
	v_cndmask_b32_e64 v64, v64, v67, s[0:1]
; %bb.259:                              ;   in Loop: Header=BB4_3 Depth=1
	s_or_b64 exec, exec, s[26:27]
	v_and_b32_e32 v65, 0xffff0000, v65
	v_fma_f32 v67, v65, v54, v52
	v_and_b32_e32 v65, 0x7f800000, v67
	v_cmp_ne_u32_e64 s[0:1], s6, v65
                                        ; implicit-def: $vgpr65
	s_and_saveexec_b64 s[26:27], s[0:1]
	s_xor_b64 s[0:1], exec, s[26:27]
; %bb.260:                              ;   in Loop: Header=BB4_3 Depth=1
	v_bfe_u32 v65, v67, 16, 1
	v_add3_u32 v65, v67, v65, s30
                                        ; implicit-def: $vgpr67
; %bb.261:                              ;   in Loop: Header=BB4_3 Depth=1
	s_andn2_saveexec_b64 s[26:27], s[0:1]
; %bb.262:                              ;   in Loop: Header=BB4_3 Depth=1
	v_or_b32_e32 v65, 0x10000, v67
	v_cmp_eq_u32_sdwa s[0:1], v67, v35 src0_sel:WORD_0 src1_sel:DWORD
	v_cndmask_b32_e64 v65, v65, v67, s[0:1]
; %bb.263:                              ;   in Loop: Header=BB4_3 Depth=1
	s_or_b64 exec, exec, s[26:27]
	v_and_b32_e32 v66, 0xffff0000, v66
	v_fmac_f32_e32 v52, v66, v54
	v_and_b32_e32 v54, 0x7f800000, v52
	v_cmp_ne_u32_e64 s[0:1], s6, v54
                                        ; implicit-def: $vgpr54
	s_and_saveexec_b64 s[26:27], s[0:1]
	s_xor_b64 s[0:1], exec, s[26:27]
; %bb.264:                              ;   in Loop: Header=BB4_3 Depth=1
	v_bfe_u32 v54, v52, 16, 1
	v_add3_u32 v54, v52, v54, s30
                                        ; implicit-def: $vgpr52
; %bb.265:                              ;   in Loop: Header=BB4_3 Depth=1
	s_andn2_saveexec_b64 s[26:27], s[0:1]
	s_cbranch_execz .LBB4_2
; %bb.266:                              ;   in Loop: Header=BB4_3 Depth=1
	v_or_b32_e32 v54, 0x10000, v52
	v_cmp_eq_u32_sdwa s[0:1], v52, v35 src0_sel:WORD_0 src1_sel:DWORD
	v_cndmask_b32_e64 v54, v54, v52, s[0:1]
	s_branch .LBB4_2
.LBB4_267:
	s_or_b64 exec, exec, s[10:11]
.LBB4_268:
	s_or_b64 exec, exec, s[4:5]
	v_lshl_add_u32 v14, v28, 2, s19
	v_cmp_gt_u32_e32 vcc, s3, v14
	s_and_saveexec_b64 s[0:1], vcc
	s_cbranch_execz .LBB4_402
; %bb.269:
	v_lshl_or_b32 v8, s8, 4, v29
	v_mul_lo_u32 v6, v8, s18
	v_ashrrev_i32_e32 v7, 31, v6
	v_and_b32_e32 v4, 0xfc, v27
	v_lshlrev_b64 v[6:7], 1, v[6:7]
	v_lshl_add_u32 v4, v14, 4, v4
	v_mov_b32_e32 v5, s21
	v_add_co_u32_e32 v6, vcc, s20, v6
	v_addc_co_u32_e32 v7, vcc, v5, v7, vcc
	v_ashrrev_i32_e32 v5, 31, v4
	v_lshlrev_b64 v[4:5], 1, v[4:5]
	v_add_co_u32_e32 v12, vcc, v6, v4
	v_addc_co_u32_e32 v13, vcc, v7, v5, vcc
	v_cmp_gt_i32_e32 vcc, s16, v8
	v_mov_b32_e32 v4, 0
	v_mov_b32_e32 v10, 0
	;; [unrolled: 1-line block ×5, first 2 shown]
	s_and_saveexec_b64 s[4:5], vcc
	s_cbranch_execz .LBB4_271
; %bb.270:
	global_load_dwordx2 v[10:11], v[12:13], off
	global_load_dwordx2 v[8:9], v[12:13], off offset:32
.LBB4_271:
	s_or_b64 exec, exec, s[4:5]
	v_mov_b32_e32 v5, 0
	v_mov_b32_e32 v6, 0
	;; [unrolled: 1-line block ×3, first 2 shown]
	s_and_saveexec_b64 s[4:5], vcc
	s_cbranch_execz .LBB4_273
; %bb.272:
	global_load_dwordx2 v[4:5], v[12:13], off offset:64
	global_load_dwordx2 v[6:7], v[12:13], off offset:96
.LBB4_273:
	s_or_b64 exec, exec, s[4:5]
	s_lshr_b32 s4, s9, 30
	s_add_i32 s3, s3, s4
	s_lshr_b32 s3, s3, 2
	s_mul_i32 s3, s3, s7
	v_ashrrev_i32_e32 v14, 2, v14
	v_add_u32_e32 v12, s3, v14
	v_lshl_add_u32 v12, v12, 7, v30
	v_ashrrev_i32_e32 v13, 31, v12
	v_lshlrev_b64 v[12:13], 2, v[12:13]
	v_mov_b32_e32 v15, s23
	v_add_co_u32_e32 v12, vcc, s22, v12
	v_mul_lo_u32 v14, s2, v14
	v_addc_co_u32_e32 v13, vcc, v15, v13, vcc
	v_lshl_or_b32 v15, s7, 4, v29
	v_lshlrev_b32_e32 v14, 4, v14
	global_load_dwordx2 v[12:13], v[12:13], off
	v_add_lshl_u32 v14, v15, v14, 1
	v_ashrrev_i32_e32 v15, 31, v14
	v_lshlrev_b64 v[14:15], 1, v[14:15]
	v_mov_b32_e32 v16, s13
	v_add_co_u32_e32 v14, vcc, s12, v14
	v_addc_co_u32_e32 v15, vcc, v16, v15, vcc
	global_load_dword v14, v[14:15], off
	v_mov_b32_e32 v15, 0xf000f
	v_mov_b32_e32 v17, 0x43004300
	s_waitcnt vmcnt(1)
	;;#ASMSTART
	v_and_or_b32 v16, v12, v15, v17
	;;#ASMEND
	s_mov_b32 s2, 0x7f800000
	v_lshrrev_b32_e32 v18, 4, v12
	v_lshrrev_b32_e32 v19, 8, v12
	;; [unrolled: 1-line block ×3, first 2 shown]
	;;#ASMSTART
	v_and_or_b32 v18, v18, v15, v17
	;;#ASMEND
	;;#ASMSTART
	v_and_or_b32 v20, v19, v15, v17
	;;#ASMEND
	;; [unrolled: 3-line block ×3, first 2 shown]
	v_lshlrev_b32_e32 v12, 16, v16
	v_add_f32_e32 v17, 0xc3080000, v12
	v_and_b32_e32 v12, 0x7f800000, v17
	v_cmp_ne_u32_e32 vcc, s2, v12
                                        ; implicit-def: $vgpr12
	s_and_saveexec_b64 s[2:3], vcc
	s_xor_b64 s[2:3], exec, s[2:3]
; %bb.274:
	v_bfe_u32 v12, v17, 16, 1
	s_movk_i32 s4, 0x7fff
	v_add3_u32 v12, v17, v12, s4
                                        ; implicit-def: $vgpr17
; %bb.275:
	s_andn2_saveexec_b64 s[2:3], s[2:3]
; %bb.276:
	v_mov_b32_e32 v12, 0
	v_or_b32_e32 v19, 0x10000, v17
	v_cmp_eq_u32_sdwa vcc, v17, v12 src0_sel:WORD_0 src1_sel:DWORD
	v_cndmask_b32_e32 v12, v19, v17, vcc
; %bb.277:
	s_or_b64 exec, exec, s[2:3]
	v_and_b32_e32 v16, 0xffff0000, v16
	v_add_f32_e32 v17, 0xc3080000, v16
	s_mov_b32 s2, 0x7f800000
	v_and_b32_e32 v16, 0x7f800000, v17
	v_cmp_ne_u32_e32 vcc, s2, v16
                                        ; implicit-def: $vgpr16
	s_and_saveexec_b64 s[2:3], vcc
	s_xor_b64 s[2:3], exec, s[2:3]
; %bb.278:
	v_bfe_u32 v16, v17, 16, 1
	s_movk_i32 s4, 0x7fff
	v_add3_u32 v16, v17, v16, s4
                                        ; implicit-def: $vgpr17
; %bb.279:
	s_andn2_saveexec_b64 s[2:3], s[2:3]
; %bb.280:
	v_mov_b32_e32 v16, 0
	v_or_b32_e32 v19, 0x10000, v17
	v_cmp_eq_u32_sdwa vcc, v17, v16 src0_sel:WORD_0 src1_sel:DWORD
	v_cndmask_b32_e32 v16, v19, v17, vcc
; %bb.281:
	s_or_b64 exec, exec, s[2:3]
	v_lshlrev_b32_e32 v17, 16, v18
	v_add_f32_e32 v19, 0xc3080000, v17
	s_mov_b32 s2, 0x7f800000
	v_and_b32_e32 v17, 0x7f800000, v19
	v_cmp_ne_u32_e32 vcc, s2, v17
                                        ; implicit-def: $vgpr17
	s_and_saveexec_b64 s[2:3], vcc
	s_xor_b64 s[2:3], exec, s[2:3]
; %bb.282:
	v_bfe_u32 v17, v19, 16, 1
	s_movk_i32 s4, 0x7fff
	v_add3_u32 v17, v19, v17, s4
                                        ; implicit-def: $vgpr19
; %bb.283:
	s_andn2_saveexec_b64 s[2:3], s[2:3]
; %bb.284:
	v_mov_b32_e32 v17, 0
	v_or_b32_e32 v21, 0x10000, v19
	v_cmp_eq_u32_sdwa vcc, v19, v17 src0_sel:WORD_0 src1_sel:DWORD
	v_cndmask_b32_e32 v17, v21, v19, vcc
; %bb.285:
	s_or_b64 exec, exec, s[2:3]
	v_and_b32_e32 v18, 0xffff0000, v18
	v_add_f32_e32 v19, 0xc3080000, v18
	s_mov_b32 s2, 0x7f800000
	v_and_b32_e32 v18, 0x7f800000, v19
	v_cmp_ne_u32_e32 vcc, s2, v18
                                        ; implicit-def: $vgpr18
	s_and_saveexec_b64 s[2:3], vcc
	s_xor_b64 s[2:3], exec, s[2:3]
; %bb.286:
	v_bfe_u32 v18, v19, 16, 1
	s_movk_i32 s4, 0x7fff
	v_add3_u32 v18, v19, v18, s4
                                        ; implicit-def: $vgpr19
; %bb.287:
	s_andn2_saveexec_b64 s[2:3], s[2:3]
; %bb.288:
	v_mov_b32_e32 v18, 0
	v_or_b32_e32 v21, 0x10000, v19
	v_cmp_eq_u32_sdwa vcc, v19, v18 src0_sel:WORD_0 src1_sel:DWORD
	v_cndmask_b32_e32 v18, v21, v19, vcc
; %bb.289:
	s_or_b64 exec, exec, s[2:3]
	v_lshlrev_b32_e32 v19, 16, v20
	v_add_f32_e32 v21, 0xc3080000, v19
	s_mov_b32 s2, 0x7f800000
	v_and_b32_e32 v19, 0x7f800000, v21
	v_cmp_ne_u32_e32 vcc, s2, v19
                                        ; implicit-def: $vgpr19
	s_and_saveexec_b64 s[2:3], vcc
	s_xor_b64 s[2:3], exec, s[2:3]
; %bb.290:
	v_bfe_u32 v19, v21, 16, 1
	s_movk_i32 s4, 0x7fff
	v_add3_u32 v19, v21, v19, s4
                                        ; implicit-def: $vgpr21
; %bb.291:
	s_andn2_saveexec_b64 s[2:3], s[2:3]
; %bb.292:
	v_mov_b32_e32 v19, 0
	v_or_b32_e32 v22, 0x10000, v21
	v_cmp_eq_u32_sdwa vcc, v21, v19 src0_sel:WORD_0 src1_sel:DWORD
	v_cndmask_b32_e32 v19, v22, v21, vcc
; %bb.293:
	s_or_b64 exec, exec, s[2:3]
	v_and_b32_e32 v20, 0xffff0000, v20
	v_add_f32_e32 v21, 0xc3080000, v20
	s_mov_b32 s2, 0x7f800000
	v_and_b32_e32 v20, 0x7f800000, v21
	v_cmp_ne_u32_e32 vcc, s2, v20
                                        ; implicit-def: $vgpr20
	s_and_saveexec_b64 s[2:3], vcc
	s_xor_b64 s[2:3], exec, s[2:3]
; %bb.294:
	v_bfe_u32 v20, v21, 16, 1
	s_movk_i32 s4, 0x7fff
	v_add3_u32 v20, v21, v20, s4
                                        ; implicit-def: $vgpr21
; %bb.295:
	s_andn2_saveexec_b64 s[2:3], s[2:3]
; %bb.296:
	v_mov_b32_e32 v20, 0
	v_or_b32_e32 v22, 0x10000, v21
	v_cmp_eq_u32_sdwa vcc, v21, v20 src0_sel:WORD_0 src1_sel:DWORD
	v_cndmask_b32_e32 v20, v22, v21, vcc
; %bb.297:
	s_or_b64 exec, exec, s[2:3]
	v_lshlrev_b32_e32 v21, 16, v15
	v_add_f32_e32 v22, 0xc3080000, v21
	s_mov_b32 s2, 0x7f800000
	v_and_b32_e32 v21, 0x7f800000, v22
	v_cmp_ne_u32_e32 vcc, s2, v21
                                        ; implicit-def: $vgpr21
	s_and_saveexec_b64 s[2:3], vcc
	s_xor_b64 s[2:3], exec, s[2:3]
; %bb.298:
	v_bfe_u32 v21, v22, 16, 1
	s_movk_i32 s4, 0x7fff
	v_add3_u32 v21, v22, v21, s4
                                        ; implicit-def: $vgpr22
; %bb.299:
	s_andn2_saveexec_b64 s[2:3], s[2:3]
; %bb.300:
	v_mov_b32_e32 v21, 0
	v_or_b32_e32 v23, 0x10000, v22
	v_cmp_eq_u32_sdwa vcc, v22, v21 src0_sel:WORD_0 src1_sel:DWORD
	v_cndmask_b32_e32 v21, v23, v22, vcc
; %bb.301:
	s_or_b64 exec, exec, s[2:3]
	v_and_b32_e32 v15, 0xffff0000, v15
	v_add_f32_e32 v15, 0xc3080000, v15
	s_mov_b32 s2, 0x7f800000
	v_and_b32_e32 v22, 0x7f800000, v15
	v_cmp_ne_u32_e32 vcc, s2, v22
                                        ; implicit-def: $vgpr22
	s_and_saveexec_b64 s[2:3], vcc
	s_xor_b64 s[2:3], exec, s[2:3]
; %bb.302:
	v_bfe_u32 v22, v15, 16, 1
	s_movk_i32 s4, 0x7fff
	v_add3_u32 v22, v15, v22, s4
                                        ; implicit-def: $vgpr15
; %bb.303:
	s_andn2_saveexec_b64 s[2:3], s[2:3]
; %bb.304:
	v_mov_b32_e32 v22, 0
	v_or_b32_e32 v23, 0x10000, v15
	v_cmp_eq_u32_sdwa vcc, v15, v22 src0_sel:WORD_0 src1_sel:DWORD
	v_cndmask_b32_e32 v22, v23, v15, vcc
; %bb.305:
	s_or_b64 exec, exec, s[2:3]
	v_and_b32_e32 v23, 0xffff0000, v12
	s_waitcnt vmcnt(0)
	v_lshlrev_b32_e32 v15, 16, v14
	v_and_b32_e32 v12, 0xffff0000, v14
	v_fma_f32 v23, v23, v15, v12
	s_mov_b32 s2, 0x7f800000
	v_and_b32_e32 v14, 0x7f800000, v23
	v_cmp_ne_u32_e32 vcc, s2, v14
                                        ; implicit-def: $vgpr14
	s_and_saveexec_b64 s[2:3], vcc
	s_xor_b64 s[2:3], exec, s[2:3]
; %bb.306:
	v_bfe_u32 v14, v23, 16, 1
	s_movk_i32 s4, 0x7fff
	v_add3_u32 v14, v23, v14, s4
                                        ; implicit-def: $vgpr23
; %bb.307:
	s_andn2_saveexec_b64 s[2:3], s[2:3]
; %bb.308:
	v_mov_b32_e32 v14, 0
	v_or_b32_e32 v24, 0x10000, v23
	v_cmp_eq_u32_sdwa vcc, v23, v14 src0_sel:WORD_0 src1_sel:DWORD
	v_cndmask_b32_e32 v14, v24, v23, vcc
; %bb.309:
	s_or_b64 exec, exec, s[2:3]
	v_and_b32_e32 v16, 0xffff0000, v16
	v_fma_f32 v23, v16, v15, v12
	s_mov_b32 s2, 0x7f800000
	v_and_b32_e32 v16, 0x7f800000, v23
	v_cmp_ne_u32_e32 vcc, s2, v16
                                        ; implicit-def: $vgpr16
	s_and_saveexec_b64 s[2:3], vcc
	s_xor_b64 s[2:3], exec, s[2:3]
; %bb.310:
	v_bfe_u32 v16, v23, 16, 1
	s_movk_i32 s4, 0x7fff
	v_add3_u32 v16, v23, v16, s4
                                        ; implicit-def: $vgpr23
; %bb.311:
	s_andn2_saveexec_b64 s[2:3], s[2:3]
; %bb.312:
	v_mov_b32_e32 v16, 0
	v_or_b32_e32 v24, 0x10000, v23
	v_cmp_eq_u32_sdwa vcc, v23, v16 src0_sel:WORD_0 src1_sel:DWORD
	v_cndmask_b32_e32 v16, v24, v23, vcc
; %bb.313:
	s_or_b64 exec, exec, s[2:3]
	v_and_b32_e32 v17, 0xffff0000, v17
	v_fma_f32 v23, v17, v15, v12
	s_mov_b32 s2, 0x7f800000
	v_and_b32_e32 v17, 0x7f800000, v23
	v_cmp_ne_u32_e32 vcc, s2, v17
                                        ; implicit-def: $vgpr17
	s_and_saveexec_b64 s[2:3], vcc
	s_xor_b64 s[2:3], exec, s[2:3]
; %bb.314:
	v_bfe_u32 v17, v23, 16, 1
	s_movk_i32 s4, 0x7fff
	v_add3_u32 v17, v23, v17, s4
                                        ; implicit-def: $vgpr23
; %bb.315:
	s_andn2_saveexec_b64 s[2:3], s[2:3]
; %bb.316:
	v_mov_b32_e32 v17, 0
	v_or_b32_e32 v24, 0x10000, v23
	v_cmp_eq_u32_sdwa vcc, v23, v17 src0_sel:WORD_0 src1_sel:DWORD
	v_cndmask_b32_e32 v17, v24, v23, vcc
; %bb.317:
	s_or_b64 exec, exec, s[2:3]
	v_and_b32_e32 v18, 0xffff0000, v18
	v_fma_f32 v23, v18, v15, v12
	s_mov_b32 s2, 0x7f800000
	v_and_b32_e32 v18, 0x7f800000, v23
	v_cmp_ne_u32_e32 vcc, s2, v18
                                        ; implicit-def: $vgpr18
	s_and_saveexec_b64 s[2:3], vcc
	s_xor_b64 s[2:3], exec, s[2:3]
; %bb.318:
	v_bfe_u32 v18, v23, 16, 1
	s_movk_i32 s4, 0x7fff
	v_add3_u32 v18, v23, v18, s4
                                        ; implicit-def: $vgpr23
; %bb.319:
	s_andn2_saveexec_b64 s[2:3], s[2:3]
; %bb.320:
	v_mov_b32_e32 v18, 0
	v_or_b32_e32 v24, 0x10000, v23
	v_cmp_eq_u32_sdwa vcc, v23, v18 src0_sel:WORD_0 src1_sel:DWORD
	v_cndmask_b32_e32 v18, v24, v23, vcc
; %bb.321:
	s_or_b64 exec, exec, s[2:3]
	v_and_b32_e32 v19, 0xffff0000, v19
	v_fma_f32 v23, v19, v15, v12
	s_mov_b32 s2, 0x7f800000
	v_and_b32_e32 v19, 0x7f800000, v23
	v_cmp_ne_u32_e32 vcc, s2, v19
                                        ; implicit-def: $vgpr19
	s_and_saveexec_b64 s[2:3], vcc
	s_xor_b64 s[2:3], exec, s[2:3]
; %bb.322:
	v_bfe_u32 v19, v23, 16, 1
	s_movk_i32 s4, 0x7fff
	v_add3_u32 v19, v23, v19, s4
                                        ; implicit-def: $vgpr23
; %bb.323:
	s_andn2_saveexec_b64 s[2:3], s[2:3]
; %bb.324:
	v_mov_b32_e32 v19, 0
	v_or_b32_e32 v24, 0x10000, v23
	v_cmp_eq_u32_sdwa vcc, v23, v19 src0_sel:WORD_0 src1_sel:DWORD
	v_cndmask_b32_e32 v19, v24, v23, vcc
; %bb.325:
	s_or_b64 exec, exec, s[2:3]
	v_and_b32_e32 v20, 0xffff0000, v20
	v_fma_f32 v23, v20, v15, v12
	s_mov_b32 s2, 0x7f800000
	v_and_b32_e32 v20, 0x7f800000, v23
	v_cmp_ne_u32_e32 vcc, s2, v20
                                        ; implicit-def: $vgpr20
	s_and_saveexec_b64 s[2:3], vcc
	s_xor_b64 s[2:3], exec, s[2:3]
; %bb.326:
	v_bfe_u32 v20, v23, 16, 1
	s_movk_i32 s4, 0x7fff
	v_add3_u32 v20, v23, v20, s4
                                        ; implicit-def: $vgpr23
; %bb.327:
	s_andn2_saveexec_b64 s[2:3], s[2:3]
; %bb.328:
	v_mov_b32_e32 v20, 0
	v_or_b32_e32 v24, 0x10000, v23
	v_cmp_eq_u32_sdwa vcc, v23, v20 src0_sel:WORD_0 src1_sel:DWORD
	v_cndmask_b32_e32 v20, v24, v23, vcc
; %bb.329:
	s_or_b64 exec, exec, s[2:3]
	v_and_b32_e32 v21, 0xffff0000, v21
	v_fma_f32 v23, v21, v15, v12
	s_mov_b32 s2, 0x7f800000
	v_and_b32_e32 v21, 0x7f800000, v23
	v_cmp_ne_u32_e32 vcc, s2, v21
                                        ; implicit-def: $vgpr21
	s_and_saveexec_b64 s[2:3], vcc
	s_xor_b64 s[2:3], exec, s[2:3]
; %bb.330:
	v_bfe_u32 v21, v23, 16, 1
	s_movk_i32 s4, 0x7fff
	v_add3_u32 v21, v23, v21, s4
                                        ; implicit-def: $vgpr23
; %bb.331:
	s_andn2_saveexec_b64 s[2:3], s[2:3]
; %bb.332:
	v_mov_b32_e32 v21, 0
	v_or_b32_e32 v24, 0x10000, v23
	v_cmp_eq_u32_sdwa vcc, v23, v21 src0_sel:WORD_0 src1_sel:DWORD
	v_cndmask_b32_e32 v21, v24, v23, vcc
; %bb.333:
	s_or_b64 exec, exec, s[2:3]
	v_and_b32_e32 v22, 0xffff0000, v22
	v_fma_f32 v23, v22, v15, v12
	s_mov_b32 s2, 0x7f800000
	v_and_b32_e32 v22, 0x7f800000, v23
	v_cmp_ne_u32_e32 vcc, s2, v22
                                        ; implicit-def: $vgpr22
	s_and_saveexec_b64 s[2:3], vcc
	s_xor_b64 s[2:3], exec, s[2:3]
; %bb.334:
	v_bfe_u32 v22, v23, 16, 1
	s_movk_i32 s4, 0x7fff
	v_add3_u32 v22, v23, v22, s4
                                        ; implicit-def: $vgpr23
; %bb.335:
	s_andn2_saveexec_b64 s[2:3], s[2:3]
; %bb.336:
	v_mov_b32_e32 v22, 0
	v_or_b32_e32 v24, 0x10000, v23
	v_cmp_eq_u32_sdwa vcc, v23, v22 src0_sel:WORD_0 src1_sel:DWORD
	v_cndmask_b32_e32 v22, v24, v23, vcc
; %bb.337:
	s_or_b64 exec, exec, s[2:3]
	v_mov_b32_e32 v24, 0xf000f
	v_mov_b32_e32 v29, 0x43004300
	;;#ASMSTART
	v_and_or_b32 v23, v13, v24, v29
	;;#ASMEND
	v_lshrrev_b32_e32 v25, 4, v13
	v_lshrrev_b32_e32 v30, 8, v13
	;; [unrolled: 1-line block ×3, first 2 shown]
	;;#ASMSTART
	v_and_or_b32 v25, v25, v24, v29
	;;#ASMEND
	;;#ASMSTART
	v_and_or_b32 v30, v30, v24, v29
	;;#ASMEND
	;; [unrolled: 3-line block ×3, first 2 shown]
	v_lshlrev_b32_e32 v13, 16, v23
	v_add_f32_e32 v24, 0xc3080000, v13
	s_mov_b32 s2, 0x7f800000
	v_and_b32_e32 v13, 0x7f800000, v24
	v_cmp_ne_u32_e32 vcc, s2, v13
                                        ; implicit-def: $vgpr13
	s_and_saveexec_b64 s[2:3], vcc
	s_xor_b64 s[2:3], exec, s[2:3]
; %bb.338:
	v_bfe_u32 v13, v24, 16, 1
	s_movk_i32 s4, 0x7fff
	v_add3_u32 v13, v24, v13, s4
                                        ; implicit-def: $vgpr24
; %bb.339:
	s_andn2_saveexec_b64 s[2:3], s[2:3]
; %bb.340:
	v_mov_b32_e32 v13, 0
	v_or_b32_e32 v29, 0x10000, v24
	v_cmp_eq_u32_sdwa vcc, v24, v13 src0_sel:WORD_0 src1_sel:DWORD
	v_cndmask_b32_e32 v13, v29, v24, vcc
; %bb.341:
	s_or_b64 exec, exec, s[2:3]
	v_and_b32_e32 v23, 0xffff0000, v23
	v_add_f32_e32 v24, 0xc3080000, v23
	s_mov_b32 s2, 0x7f800000
	v_and_b32_e32 v23, 0x7f800000, v24
	v_cmp_ne_u32_e32 vcc, s2, v23
                                        ; implicit-def: $vgpr23
	s_and_saveexec_b64 s[2:3], vcc
	s_xor_b64 s[2:3], exec, s[2:3]
; %bb.342:
	v_bfe_u32 v23, v24, 16, 1
	s_movk_i32 s4, 0x7fff
	v_add3_u32 v23, v24, v23, s4
                                        ; implicit-def: $vgpr24
; %bb.343:
	s_andn2_saveexec_b64 s[2:3], s[2:3]
; %bb.344:
	v_mov_b32_e32 v23, 0
	v_or_b32_e32 v29, 0x10000, v24
	v_cmp_eq_u32_sdwa vcc, v24, v23 src0_sel:WORD_0 src1_sel:DWORD
	v_cndmask_b32_e32 v23, v29, v24, vcc
; %bb.345:
	s_or_b64 exec, exec, s[2:3]
	v_lshlrev_b32_e32 v24, 16, v25
	v_add_f32_e32 v29, 0xc3080000, v24
	s_mov_b32 s2, 0x7f800000
	v_and_b32_e32 v24, 0x7f800000, v29
	v_cmp_ne_u32_e32 vcc, s2, v24
                                        ; implicit-def: $vgpr24
	s_and_saveexec_b64 s[2:3], vcc
	s_xor_b64 s[2:3], exec, s[2:3]
; %bb.346:
	v_bfe_u32 v24, v29, 16, 1
	s_movk_i32 s4, 0x7fff
	v_add3_u32 v24, v29, v24, s4
                                        ; implicit-def: $vgpr29
; %bb.347:
	s_andn2_saveexec_b64 s[2:3], s[2:3]
; %bb.348:
	v_mov_b32_e32 v24, 0
	v_or_b32_e32 v31, 0x10000, v29
	v_cmp_eq_u32_sdwa vcc, v29, v24 src0_sel:WORD_0 src1_sel:DWORD
	v_cndmask_b32_e32 v24, v31, v29, vcc
; %bb.349:
	s_or_b64 exec, exec, s[2:3]
	v_and_b32_e32 v25, 0xffff0000, v25
	v_add_f32_e32 v29, 0xc3080000, v25
	s_mov_b32 s2, 0x7f800000
	v_and_b32_e32 v25, 0x7f800000, v29
	v_cmp_ne_u32_e32 vcc, s2, v25
                                        ; implicit-def: $vgpr25
	s_and_saveexec_b64 s[2:3], vcc
	s_xor_b64 s[2:3], exec, s[2:3]
; %bb.350:
	v_bfe_u32 v25, v29, 16, 1
	s_movk_i32 s4, 0x7fff
	v_add3_u32 v25, v29, v25, s4
                                        ; implicit-def: $vgpr29
; %bb.351:
	s_andn2_saveexec_b64 s[2:3], s[2:3]
; %bb.352:
	v_mov_b32_e32 v25, 0
	v_or_b32_e32 v31, 0x10000, v29
	v_cmp_eq_u32_sdwa vcc, v29, v25 src0_sel:WORD_0 src1_sel:DWORD
	v_cndmask_b32_e32 v25, v31, v29, vcc
; %bb.353:
	s_or_b64 exec, exec, s[2:3]
	v_lshlrev_b32_e32 v29, 16, v30
	v_add_f32_e32 v31, 0xc3080000, v29
	s_mov_b32 s2, 0x7f800000
	v_and_b32_e32 v29, 0x7f800000, v31
	v_cmp_ne_u32_e32 vcc, s2, v29
                                        ; implicit-def: $vgpr29
	s_and_saveexec_b64 s[2:3], vcc
	s_xor_b64 s[2:3], exec, s[2:3]
; %bb.354:
	v_bfe_u32 v29, v31, 16, 1
	s_movk_i32 s4, 0x7fff
	v_add3_u32 v29, v31, v29, s4
                                        ; implicit-def: $vgpr31
; %bb.355:
	s_andn2_saveexec_b64 s[2:3], s[2:3]
; %bb.356:
	v_mov_b32_e32 v29, 0
	v_or_b32_e32 v33, 0x10000, v31
	v_cmp_eq_u32_sdwa vcc, v31, v29 src0_sel:WORD_0 src1_sel:DWORD
	v_cndmask_b32_e32 v29, v33, v31, vcc
; %bb.357:
	s_or_b64 exec, exec, s[2:3]
	v_and_b32_e32 v30, 0xffff0000, v30
	v_add_f32_e32 v31, 0xc3080000, v30
	s_mov_b32 s2, 0x7f800000
	v_and_b32_e32 v30, 0x7f800000, v31
	v_cmp_ne_u32_e32 vcc, s2, v30
                                        ; implicit-def: $vgpr30
	s_and_saveexec_b64 s[2:3], vcc
	s_xor_b64 s[2:3], exec, s[2:3]
; %bb.358:
	v_bfe_u32 v30, v31, 16, 1
	s_movk_i32 s4, 0x7fff
	v_add3_u32 v30, v31, v30, s4
                                        ; implicit-def: $vgpr31
; %bb.359:
	s_andn2_saveexec_b64 s[2:3], s[2:3]
; %bb.360:
	v_mov_b32_e32 v30, 0
	v_or_b32_e32 v33, 0x10000, v31
	v_cmp_eq_u32_sdwa vcc, v31, v30 src0_sel:WORD_0 src1_sel:DWORD
	v_cndmask_b32_e32 v30, v33, v31, vcc
; %bb.361:
	s_or_b64 exec, exec, s[2:3]
	v_lshlrev_b32_e32 v31, 16, v32
	v_add_f32_e32 v33, 0xc3080000, v31
	s_mov_b32 s2, 0x7f800000
	v_and_b32_e32 v31, 0x7f800000, v33
	v_cmp_ne_u32_e32 vcc, s2, v31
                                        ; implicit-def: $vgpr31
	s_and_saveexec_b64 s[2:3], vcc
	s_xor_b64 s[2:3], exec, s[2:3]
; %bb.362:
	v_bfe_u32 v31, v33, 16, 1
	s_movk_i32 s4, 0x7fff
	v_add3_u32 v31, v33, v31, s4
                                        ; implicit-def: $vgpr33
; %bb.363:
	s_andn2_saveexec_b64 s[2:3], s[2:3]
; %bb.364:
	v_mov_b32_e32 v31, 0
	v_or_b32_e32 v34, 0x10000, v33
	v_cmp_eq_u32_sdwa vcc, v33, v31 src0_sel:WORD_0 src1_sel:DWORD
	v_cndmask_b32_e32 v31, v34, v33, vcc
; %bb.365:
	s_or_b64 exec, exec, s[2:3]
	v_and_b32_e32 v32, 0xffff0000, v32
	v_add_f32_e32 v33, 0xc3080000, v32
	s_mov_b32 s2, 0x7f800000
	v_and_b32_e32 v32, 0x7f800000, v33
	v_cmp_ne_u32_e32 vcc, s2, v32
                                        ; implicit-def: $vgpr32
	s_and_saveexec_b64 s[2:3], vcc
	s_xor_b64 s[2:3], exec, s[2:3]
; %bb.366:
	v_bfe_u32 v32, v33, 16, 1
	s_movk_i32 s4, 0x7fff
	v_add3_u32 v32, v33, v32, s4
                                        ; implicit-def: $vgpr33
; %bb.367:
	s_andn2_saveexec_b64 s[2:3], s[2:3]
; %bb.368:
	v_mov_b32_e32 v32, 0
	v_or_b32_e32 v34, 0x10000, v33
	v_cmp_eq_u32_sdwa vcc, v33, v32 src0_sel:WORD_0 src1_sel:DWORD
	v_cndmask_b32_e32 v32, v34, v33, vcc
; %bb.369:
	s_or_b64 exec, exec, s[2:3]
	v_and_b32_e32 v13, 0xffff0000, v13
	v_fma_f32 v33, v13, v15, v12
	s_mov_b32 s2, 0x7f800000
	v_and_b32_e32 v13, 0x7f800000, v33
	v_cmp_ne_u32_e32 vcc, s2, v13
                                        ; implicit-def: $vgpr13
	s_and_saveexec_b64 s[2:3], vcc
	s_xor_b64 s[2:3], exec, s[2:3]
; %bb.370:
	v_bfe_u32 v13, v33, 16, 1
	s_movk_i32 s4, 0x7fff
	v_add3_u32 v13, v33, v13, s4
                                        ; implicit-def: $vgpr33
; %bb.371:
	s_andn2_saveexec_b64 s[2:3], s[2:3]
; %bb.372:
	v_mov_b32_e32 v13, 0
	v_or_b32_e32 v34, 0x10000, v33
	v_cmp_eq_u32_sdwa vcc, v33, v13 src0_sel:WORD_0 src1_sel:DWORD
	v_cndmask_b32_e32 v13, v34, v33, vcc
; %bb.373:
	s_or_b64 exec, exec, s[2:3]
	v_and_b32_e32 v23, 0xffff0000, v23
	v_fma_f32 v33, v23, v15, v12
	s_mov_b32 s2, 0x7f800000
	v_and_b32_e32 v23, 0x7f800000, v33
	v_cmp_ne_u32_e32 vcc, s2, v23
                                        ; implicit-def: $vgpr23
	s_and_saveexec_b64 s[2:3], vcc
	s_xor_b64 s[2:3], exec, s[2:3]
; %bb.374:
	v_bfe_u32 v23, v33, 16, 1
	s_movk_i32 s4, 0x7fff
	v_add3_u32 v23, v33, v23, s4
                                        ; implicit-def: $vgpr33
; %bb.375:
	s_andn2_saveexec_b64 s[2:3], s[2:3]
; %bb.376:
	v_mov_b32_e32 v23, 0
	v_or_b32_e32 v34, 0x10000, v33
	v_cmp_eq_u32_sdwa vcc, v33, v23 src0_sel:WORD_0 src1_sel:DWORD
	v_cndmask_b32_e32 v23, v34, v33, vcc
; %bb.377:
	s_or_b64 exec, exec, s[2:3]
	v_and_b32_e32 v24, 0xffff0000, v24
	v_fma_f32 v33, v24, v15, v12
	s_mov_b32 s2, 0x7f800000
	v_and_b32_e32 v24, 0x7f800000, v33
	v_cmp_ne_u32_e32 vcc, s2, v24
                                        ; implicit-def: $vgpr24
	s_and_saveexec_b64 s[2:3], vcc
	s_xor_b64 s[2:3], exec, s[2:3]
; %bb.378:
	v_bfe_u32 v24, v33, 16, 1
	s_movk_i32 s4, 0x7fff
	v_add3_u32 v24, v33, v24, s4
                                        ; implicit-def: $vgpr33
; %bb.379:
	s_andn2_saveexec_b64 s[2:3], s[2:3]
; %bb.380:
	v_mov_b32_e32 v24, 0
	v_or_b32_e32 v34, 0x10000, v33
	v_cmp_eq_u32_sdwa vcc, v33, v24 src0_sel:WORD_0 src1_sel:DWORD
	v_cndmask_b32_e32 v24, v34, v33, vcc
; %bb.381:
	s_or_b64 exec, exec, s[2:3]
	v_and_b32_e32 v25, 0xffff0000, v25
	v_fma_f32 v33, v25, v15, v12
	s_mov_b32 s2, 0x7f800000
	v_and_b32_e32 v25, 0x7f800000, v33
	v_cmp_ne_u32_e32 vcc, s2, v25
                                        ; implicit-def: $vgpr25
	s_and_saveexec_b64 s[2:3], vcc
	s_xor_b64 s[2:3], exec, s[2:3]
; %bb.382:
	v_bfe_u32 v25, v33, 16, 1
	s_movk_i32 s4, 0x7fff
	v_add3_u32 v25, v33, v25, s4
                                        ; implicit-def: $vgpr33
; %bb.383:
	s_andn2_saveexec_b64 s[2:3], s[2:3]
; %bb.384:
	v_mov_b32_e32 v25, 0
	v_or_b32_e32 v34, 0x10000, v33
	v_cmp_eq_u32_sdwa vcc, v33, v25 src0_sel:WORD_0 src1_sel:DWORD
	v_cndmask_b32_e32 v25, v34, v33, vcc
; %bb.385:
	s_or_b64 exec, exec, s[2:3]
	v_and_b32_e32 v29, 0xffff0000, v29
	v_fma_f32 v33, v29, v15, v12
	s_mov_b32 s2, 0x7f800000
	v_and_b32_e32 v29, 0x7f800000, v33
	v_cmp_ne_u32_e32 vcc, s2, v29
                                        ; implicit-def: $vgpr29
	s_and_saveexec_b64 s[2:3], vcc
	s_xor_b64 s[2:3], exec, s[2:3]
; %bb.386:
	v_bfe_u32 v29, v33, 16, 1
	s_movk_i32 s4, 0x7fff
	v_add3_u32 v29, v33, v29, s4
                                        ; implicit-def: $vgpr33
; %bb.387:
	s_andn2_saveexec_b64 s[2:3], s[2:3]
; %bb.388:
	v_mov_b32_e32 v29, 0
	v_or_b32_e32 v34, 0x10000, v33
	v_cmp_eq_u32_sdwa vcc, v33, v29 src0_sel:WORD_0 src1_sel:DWORD
	v_cndmask_b32_e32 v29, v34, v33, vcc
; %bb.389:
	s_or_b64 exec, exec, s[2:3]
	v_and_b32_e32 v30, 0xffff0000, v30
	v_fma_f32 v33, v30, v15, v12
	s_mov_b32 s2, 0x7f800000
	v_and_b32_e32 v30, 0x7f800000, v33
	v_cmp_ne_u32_e32 vcc, s2, v30
                                        ; implicit-def: $vgpr30
	s_and_saveexec_b64 s[2:3], vcc
	s_xor_b64 s[2:3], exec, s[2:3]
; %bb.390:
	v_bfe_u32 v30, v33, 16, 1
	s_movk_i32 s4, 0x7fff
	v_add3_u32 v30, v33, v30, s4
                                        ; implicit-def: $vgpr33
; %bb.391:
	s_andn2_saveexec_b64 s[2:3], s[2:3]
; %bb.392:
	v_mov_b32_e32 v30, 0
	v_or_b32_e32 v34, 0x10000, v33
	v_cmp_eq_u32_sdwa vcc, v33, v30 src0_sel:WORD_0 src1_sel:DWORD
	v_cndmask_b32_e32 v30, v34, v33, vcc
; %bb.393:
	s_or_b64 exec, exec, s[2:3]
	v_and_b32_e32 v31, 0xffff0000, v31
	v_fma_f32 v33, v31, v15, v12
	s_mov_b32 s2, 0x7f800000
	v_and_b32_e32 v31, 0x7f800000, v33
	v_cmp_ne_u32_e32 vcc, s2, v31
                                        ; implicit-def: $vgpr31
	s_and_saveexec_b64 s[2:3], vcc
	s_xor_b64 s[2:3], exec, s[2:3]
; %bb.394:
	v_bfe_u32 v31, v33, 16, 1
	s_movk_i32 s4, 0x7fff
	v_add3_u32 v31, v33, v31, s4
                                        ; implicit-def: $vgpr33
; %bb.395:
	s_andn2_saveexec_b64 s[2:3], s[2:3]
; %bb.396:
	v_mov_b32_e32 v31, 0
	v_or_b32_e32 v34, 0x10000, v33
	v_cmp_eq_u32_sdwa vcc, v33, v31 src0_sel:WORD_0 src1_sel:DWORD
	v_cndmask_b32_e32 v31, v34, v33, vcc
; %bb.397:
	s_or_b64 exec, exec, s[2:3]
	v_and_b32_e32 v32, 0xffff0000, v32
	v_fmac_f32_e32 v12, v32, v15
	s_mov_b32 s2, 0x7f800000
	v_and_b32_e32 v15, 0x7f800000, v12
	v_cmp_ne_u32_e32 vcc, s2, v15
                                        ; implicit-def: $vgpr15
	s_and_saveexec_b64 s[2:3], vcc
	s_xor_b64 s[2:3], exec, s[2:3]
; %bb.398:
	v_bfe_u32 v15, v12, 16, 1
	s_movk_i32 s4, 0x7fff
	v_add3_u32 v15, v12, v15, s4
                                        ; implicit-def: $vgpr12
; %bb.399:
	s_andn2_saveexec_b64 s[2:3], s[2:3]
; %bb.400:
	v_mov_b32_e32 v15, 0
	v_or_b32_e32 v32, 0x10000, v12
	v_cmp_eq_u32_sdwa vcc, v12, v15 src0_sel:WORD_0 src1_sel:DWORD
	v_cndmask_b32_e32 v15, v32, v12, vcc
; %bb.401:
	s_or_b64 exec, exec, s[2:3]
	s_mov_b32 s2, 0x3020706
	v_perm_b32 v17, v17, v18, s2
	v_perm_b32 v16, v14, v16, s2
	;; [unrolled: 1-line block ×3, first 2 shown]
	s_nop 0
	v_mfma_f32_16x16x16bf16_1k v[32:35], v[10:11], v[16:17], 0
	v_perm_b32 v11, v21, v22, s2
	v_perm_b32 v10, v19, v20, s2
	;; [unrolled: 1-line block ×5, first 2 shown]
	s_nop 5
	v_pk_add_f32 v[2:3], v[2:3], v[34:35]
	v_mfma_f32_16x16x16bf16_1k v[8:11], v[8:9], v[10:11], 0
	v_pk_add_f32 v[0:1], v[0:1], v[32:33]
	v_mfma_f32_16x16x16bf16_1k v[12:15], v[4:5], v[16:17], 0
	s_nop 7
	s_nop 0
	v_pk_add_f32 v[2:3], v[2:3], v[10:11]
	v_pk_add_f32 v[0:1], v[0:1], v[8:9]
	;; [unrolled: 1-line block ×4, first 2 shown]
	v_mfma_f32_16x16x16bf16_1k v[0:3], v[6:7], v[18:19], 0
	s_nop 7
	s_nop 2
	v_pk_add_f32 v[2:3], v[4:5], v[2:3]
	v_pk_add_f32 v[0:1], v[8:9], v[0:1]
.LBB4_402:
	s_or_b64 exec, exec, s[0:1]
	v_lshlrev_b32_e32 v29, 4, v26
	v_lshl_add_u32 v4, v28, 10, v29
	v_cmp_eq_u32_e32 vcc, 0, v28
	ds_write_b128 v4, v[0:3]
	s_waitcnt lgkmcnt(0)
	s_barrier
	s_and_saveexec_b64 s[0:1], vcc
	s_cbranch_execz .LBB4_427
; %bb.403:
	v_add_u32_e32 v0, 12, v29
	v_add_u32_e32 v1, 0x404, v29
	;; [unrolled: 1-line block ×4, first 2 shown]
	ds_read2st64_b32 v[2:3], v0 offset1:4
	ds_read2st64_b32 v[4:5], v0 offset0:8 offset1:12
	ds_read2_b32 v[10:11], v29 offset0:1 offset1:2
	ds_read2_b32 v[12:13], v1 offset1:1
	ds_read2_b32 v[14:15], v6 offset1:1
	;; [unrolled: 1-line block ×3, first 2 shown]
	v_add_u32_e32 v1, 0x1004, v29
	ds_read2st64_b32 v[6:7], v0 offset0:16 offset1:20
	v_add_u32_e32 v20, 0x1404, v29
	v_add_u32_e32 v22, 0x1804, v29
	ds_read2st64_b32 v[8:9], v0 offset0:24 offset1:28
	v_add_u32_e32 v0, 0x1c04, v29
	ds_read2_b32 v[18:19], v1 offset1:1
	ds_read2_b32 v[20:21], v20 offset1:1
	ds_read2_b32 v[22:23], v22 offset1:1
	ds_read2_b32 v[24:25], v0 offset1:1
	v_and_b32_e32 v0, 0xfc, v27
	v_lshl_add_u32 v27, s8, 4, v0
	v_mul_lo_u32 v30, v27, s17
	v_ashrrev_i32_e32 v31, 31, v30
	s_lshl_b32 s0, s7, 4
	v_lshlrev_b64 v[30:31], 1, v[30:31]
	v_and_or_b32 v0, v26, 15, s0
	v_mov_b32_e32 v1, s15
	v_add_co_u32_e32 v26, vcc, s14, v30
	v_addc_co_u32_e32 v28, vcc, v1, v31, vcc
	v_ashrrev_i32_e32 v1, 31, v0
	v_lshlrev_b64 v[0:1], 1, v[0:1]
	v_add_co_u32_e32 v0, vcc, v26, v0
	v_addc_co_u32_e32 v1, vcc, v28, v1, vcc
	v_cmp_gt_i32_e32 vcc, s16, v27
	s_and_saveexec_b64 s[0:1], vcc
	s_cbranch_execz .LBB4_409
; %bb.404:
	ds_read2st64_b32 v[30:31], v29 offset1:4
	ds_read2st64_b32 v[32:33], v29 offset0:8 offset1:12
	ds_read2st64_b32 v[34:35], v29 offset0:16 offset1:20
	ds_read2st64_b32 v[28:29], v29 offset0:24 offset1:28
	s_mov_b32 s2, 0x7f800000
	s_waitcnt lgkmcnt(3)
	v_add_f32_e32 v26, 0, v30
	v_add_f32_e32 v26, v26, v31
	s_waitcnt lgkmcnt(2)
	v_add_f32_e32 v26, v26, v32
	v_add_f32_e32 v26, v26, v33
	;; [unrolled: 3-line block ×4, first 2 shown]
	v_and_b32_e32 v28, 0x7f800000, v26
	v_cmp_ne_u32_e32 vcc, s2, v28
                                        ; implicit-def: $vgpr28
	s_and_saveexec_b64 s[2:3], vcc
	s_xor_b64 s[2:3], exec, s[2:3]
; %bb.405:
	v_bfe_u32 v28, v26, 16, 1
	s_movk_i32 s4, 0x7fff
	v_add3_u32 v28, v26, v28, s4
                                        ; implicit-def: $vgpr26
; %bb.406:
	s_andn2_saveexec_b64 s[2:3], s[2:3]
; %bb.407:
	v_mov_b32_e32 v28, 0
	v_or_b32_e32 v29, 0x10000, v26
	v_cmp_eq_u32_sdwa vcc, v26, v28 src0_sel:WORD_0 src1_sel:DWORD
	v_cndmask_b32_e32 v28, v29, v26, vcc
; %bb.408:
	s_or_b64 exec, exec, s[2:3]
	global_store_short_d16_hi v[0:1], v28, off
.LBB4_409:
	s_or_b64 exec, exec, s[0:1]
	v_or_b32_e32 v26, 1, v27
	v_cmp_gt_i32_e32 vcc, s16, v26
	s_and_saveexec_b64 s[0:1], vcc
	s_cbranch_execz .LBB4_415
; %bb.410:
	s_waitcnt lgkmcnt(9)
	v_add_f32_e32 v10, 0, v10
	s_waitcnt lgkmcnt(8)
	v_add_f32_e32 v10, v10, v12
	;; [unrolled: 2-line block ×8, first 2 shown]
	s_mov_b32 s2, 0x7f800000
	v_and_b32_e32 v10, 0x7f800000, v12
	v_cmp_ne_u32_e32 vcc, s2, v10
                                        ; implicit-def: $vgpr10
	s_and_saveexec_b64 s[2:3], vcc
	s_xor_b64 s[2:3], exec, s[2:3]
; %bb.411:
	v_bfe_u32 v10, v12, 16, 1
	s_movk_i32 s4, 0x7fff
	v_add3_u32 v10, v12, v10, s4
                                        ; implicit-def: $vgpr12
; %bb.412:
	s_andn2_saveexec_b64 s[2:3], s[2:3]
; %bb.413:
	v_mov_b32_e32 v10, 0
	v_or_b32_e32 v14, 0x10000, v12
	v_cmp_eq_u32_sdwa vcc, v12, v10 src0_sel:WORD_0 src1_sel:DWORD
	v_cndmask_b32_e32 v10, v14, v12, vcc
; %bb.414:
	s_or_b64 exec, exec, s[2:3]
	s_ashr_i32 s3, s17, 31
	s_mov_b32 s2, s17
	s_lshl_b64 s[2:3], s[2:3], 1
	v_mov_b32_e32 v12, s3
	v_add_co_u32_e32 v28, vcc, s2, v0
	v_addc_co_u32_e32 v29, vcc, v1, v12, vcc
	global_store_short_d16_hi v[28:29], v10, off
.LBB4_415:
	s_or_b64 exec, exec, s[0:1]
	s_waitcnt lgkmcnt(9)
	v_or_b32_e32 v10, 2, v27
	v_cmp_gt_i32_e32 vcc, s16, v10
	s_and_saveexec_b64 s[0:1], vcc
	s_cbranch_execz .LBB4_421
; %bb.416:
	v_add_f32_e32 v10, 0, v11
	s_waitcnt lgkmcnt(8)
	v_add_f32_e32 v10, v10, v13
	s_waitcnt lgkmcnt(7)
	;; [unrolled: 2-line block ×7, first 2 shown]
	v_add_f32_e32 v11, v10, v25
	s_mov_b32 s2, 0x7f800000
	v_and_b32_e32 v10, 0x7f800000, v11
	v_cmp_ne_u32_e32 vcc, s2, v10
                                        ; implicit-def: $vgpr10
	s_and_saveexec_b64 s[2:3], vcc
	s_xor_b64 s[2:3], exec, s[2:3]
; %bb.417:
	v_bfe_u32 v10, v11, 16, 1
	s_movk_i32 s4, 0x7fff
	v_add3_u32 v10, v11, v10, s4
                                        ; implicit-def: $vgpr11
; %bb.418:
	s_andn2_saveexec_b64 s[2:3], s[2:3]
; %bb.419:
	v_mov_b32_e32 v10, 0
	v_or_b32_e32 v12, 0x10000, v11
	v_cmp_eq_u32_sdwa vcc, v11, v10 src0_sel:WORD_0 src1_sel:DWORD
	v_cndmask_b32_e32 v10, v12, v11, vcc
; %bb.420:
	s_or_b64 exec, exec, s[2:3]
	s_lshl_b32 s2, s17, 1
	s_ashr_i32 s3, s2, 31
	s_lshl_b64 s[2:3], s[2:3], 1
	v_mov_b32_e32 v11, s3
	v_add_co_u32_e32 v12, vcc, s2, v0
	v_addc_co_u32_e32 v13, vcc, v1, v11, vcc
	global_store_short_d16_hi v[12:13], v10, off
.LBB4_421:
	s_or_b64 exec, exec, s[0:1]
	v_or_b32_e32 v10, 3, v27
	v_cmp_gt_i32_e32 vcc, s16, v10
	s_and_b64 exec, exec, vcc
	s_cbranch_execz .LBB4_427
; %bb.422:
	v_add_f32_e32 v2, 0, v2
	v_add_f32_e32 v2, v2, v3
	;; [unrolled: 1-line block ×4, first 2 shown]
	s_waitcnt lgkmcnt(5)
	v_add_f32_e32 v2, v2, v6
	v_add_f32_e32 v2, v2, v7
	s_waitcnt lgkmcnt(4)
	v_add_f32_e32 v2, v2, v8
	v_add_f32_e32 v3, v2, v9
	s_mov_b32 s0, 0x7f800000
	v_and_b32_e32 v2, 0x7f800000, v3
	v_cmp_ne_u32_e32 vcc, s0, v2
                                        ; implicit-def: $vgpr2
	s_and_saveexec_b64 s[0:1], vcc
	s_xor_b64 s[0:1], exec, s[0:1]
; %bb.423:
	v_bfe_u32 v2, v3, 16, 1
	s_movk_i32 s2, 0x7fff
	v_add3_u32 v2, v3, v2, s2
                                        ; implicit-def: $vgpr3
; %bb.424:
	s_andn2_saveexec_b64 s[0:1], s[0:1]
; %bb.425:
	v_mov_b32_e32 v2, 0
	v_or_b32_e32 v4, 0x10000, v3
	v_cmp_eq_u32_sdwa vcc, v3, v2 src0_sel:WORD_0 src1_sel:DWORD
	v_cndmask_b32_e32 v2, v4, v3, vcc
; %bb.426:
	s_or_b64 exec, exec, s[0:1]
	s_mul_i32 s0, s17, 3
	s_ashr_i32 s1, s0, 31
	s_lshl_b64 s[0:1], s[0:1], 1
	v_mov_b32_e32 v3, s1
	v_add_co_u32_e32 v0, vcc, s0, v0
	v_addc_co_u32_e32 v1, vcc, v1, v3, vcc
	global_store_short_d16_hi v[0:1], v2, off
.LBB4_427:
	s_endpgm
	.section	.rodata,"a",@progbits
	.p2align	6, 0x0
	.amdhsa_kernel _ZN2at6native30tinygemm_m16n8k16_chunk_kernelINS0_10ALayout_RMILNS0_14KReductionTypeE0EEENS0_15BLayout_TC_int4ILi4ELi64EEES4_Li8ELi8EEEvPKvS8_S8_Pviiiiii
		.amdhsa_group_segment_fixed_size 8192
		.amdhsa_private_segment_fixed_size 0
		.amdhsa_kernarg_size 56
		.amdhsa_user_sgpr_count 6
		.amdhsa_user_sgpr_private_segment_buffer 1
		.amdhsa_user_sgpr_dispatch_ptr 0
		.amdhsa_user_sgpr_queue_ptr 0
		.amdhsa_user_sgpr_kernarg_segment_ptr 1
		.amdhsa_user_sgpr_dispatch_id 0
		.amdhsa_user_sgpr_flat_scratch_init 0
		.amdhsa_user_sgpr_kernarg_preload_length 0
		.amdhsa_user_sgpr_kernarg_preload_offset 0
		.amdhsa_user_sgpr_private_segment_size 0
		.amdhsa_uses_dynamic_stack 0
		.amdhsa_system_sgpr_private_segment_wavefront_offset 0
		.amdhsa_system_sgpr_workgroup_id_x 1
		.amdhsa_system_sgpr_workgroup_id_y 1
		.amdhsa_system_sgpr_workgroup_id_z 1
		.amdhsa_system_sgpr_workgroup_info 0
		.amdhsa_system_vgpr_workitem_id 1
		.amdhsa_next_free_vgpr 70
		.amdhsa_next_free_sgpr 32
		.amdhsa_accum_offset 72
		.amdhsa_reserve_vcc 1
		.amdhsa_reserve_flat_scratch 0
		.amdhsa_float_round_mode_32 0
		.amdhsa_float_round_mode_16_64 0
		.amdhsa_float_denorm_mode_32 3
		.amdhsa_float_denorm_mode_16_64 3
		.amdhsa_dx10_clamp 1
		.amdhsa_ieee_mode 1
		.amdhsa_fp16_overflow 0
		.amdhsa_tg_split 0
		.amdhsa_exception_fp_ieee_invalid_op 0
		.amdhsa_exception_fp_denorm_src 0
		.amdhsa_exception_fp_ieee_div_zero 0
		.amdhsa_exception_fp_ieee_overflow 0
		.amdhsa_exception_fp_ieee_underflow 0
		.amdhsa_exception_fp_ieee_inexact 0
		.amdhsa_exception_int_div_zero 0
	.end_amdhsa_kernel
	.section	.text._ZN2at6native30tinygemm_m16n8k16_chunk_kernelINS0_10ALayout_RMILNS0_14KReductionTypeE0EEENS0_15BLayout_TC_int4ILi4ELi64EEES4_Li8ELi8EEEvPKvS8_S8_Pviiiiii,"axG",@progbits,_ZN2at6native30tinygemm_m16n8k16_chunk_kernelINS0_10ALayout_RMILNS0_14KReductionTypeE0EEENS0_15BLayout_TC_int4ILi4ELi64EEES4_Li8ELi8EEEvPKvS8_S8_Pviiiiii,comdat
.Lfunc_end4:
	.size	_ZN2at6native30tinygemm_m16n8k16_chunk_kernelINS0_10ALayout_RMILNS0_14KReductionTypeE0EEENS0_15BLayout_TC_int4ILi4ELi64EEES4_Li8ELi8EEEvPKvS8_S8_Pviiiiii, .Lfunc_end4-_ZN2at6native30tinygemm_m16n8k16_chunk_kernelINS0_10ALayout_RMILNS0_14KReductionTypeE0EEENS0_15BLayout_TC_int4ILi4ELi64EEES4_Li8ELi8EEEvPKvS8_S8_Pviiiiii
                                        ; -- End function
	.section	.AMDGPU.csdata,"",@progbits
; Kernel info:
; codeLenInByte = 11536
; NumSgprs: 36
; NumVgprs: 70
; NumAgprs: 0
; TotalNumVgprs: 70
; ScratchSize: 0
; MemoryBound: 0
; FloatMode: 240
; IeeeMode: 1
; LDSByteSize: 8192 bytes/workgroup (compile time only)
; SGPRBlocks: 4
; VGPRBlocks: 8
; NumSGPRsForWavesPerEU: 36
; NumVGPRsForWavesPerEU: 70
; AccumOffset: 72
; Occupancy: 7
; WaveLimiterHint : 1
; COMPUTE_PGM_RSRC2:SCRATCH_EN: 0
; COMPUTE_PGM_RSRC2:USER_SGPR: 6
; COMPUTE_PGM_RSRC2:TRAP_HANDLER: 0
; COMPUTE_PGM_RSRC2:TGID_X_EN: 1
; COMPUTE_PGM_RSRC2:TGID_Y_EN: 1
; COMPUTE_PGM_RSRC2:TGID_Z_EN: 1
; COMPUTE_PGM_RSRC2:TIDIG_COMP_CNT: 1
; COMPUTE_PGM_RSRC3_GFX90A:ACCUM_OFFSET: 17
; COMPUTE_PGM_RSRC3_GFX90A:TG_SPLIT: 0
	.section	.text._ZN2at6native30tinygemm_m16n8k16_chunk_kernelINS0_10ALayout_RMILNS0_14KReductionTypeE0EEENS0_15BLayout_TC_int4ILi8ELi64EEES4_Li8ELi8EEEvPKvS8_S8_Pviiiiii,"axG",@progbits,_ZN2at6native30tinygemm_m16n8k16_chunk_kernelINS0_10ALayout_RMILNS0_14KReductionTypeE0EEENS0_15BLayout_TC_int4ILi8ELi64EEES4_Li8ELi8EEEvPKvS8_S8_Pviiiiii,comdat
	.protected	_ZN2at6native30tinygemm_m16n8k16_chunk_kernelINS0_10ALayout_RMILNS0_14KReductionTypeE0EEENS0_15BLayout_TC_int4ILi8ELi64EEES4_Li8ELi8EEEvPKvS8_S8_Pviiiiii ; -- Begin function _ZN2at6native30tinygemm_m16n8k16_chunk_kernelINS0_10ALayout_RMILNS0_14KReductionTypeE0EEENS0_15BLayout_TC_int4ILi8ELi64EEES4_Li8ELi8EEEvPKvS8_S8_Pviiiiii
	.globl	_ZN2at6native30tinygemm_m16n8k16_chunk_kernelINS0_10ALayout_RMILNS0_14KReductionTypeE0EEENS0_15BLayout_TC_int4ILi8ELi64EEES4_Li8ELi8EEEvPKvS8_S8_Pviiiiii
	.p2align	8
	.type	_ZN2at6native30tinygemm_m16n8k16_chunk_kernelINS0_10ALayout_RMILNS0_14KReductionTypeE0EEENS0_15BLayout_TC_int4ILi8ELi64EEES4_Li8ELi8EEEvPKvS8_S8_Pviiiiii,@function
_ZN2at6native30tinygemm_m16n8k16_chunk_kernelINS0_10ALayout_RMILNS0_14KReductionTypeE0EEENS0_15BLayout_TC_int4ILi8ELi64EEES4_Li8ELi8EEEvPKvS8_S8_Pviiiiii: ; @_ZN2at6native30tinygemm_m16n8k16_chunk_kernelINS0_10ALayout_RMILNS0_14KReductionTypeE0EEENS0_15BLayout_TC_int4ILi8ELi64EEES4_Li8ELi8EEEvPKvS8_S8_Pviiiiii
; %bb.0:
	s_load_dwordx2 s[2:3], s[4:5], 0x30
	s_load_dwordx4 s[20:23], s[4:5], 0x0
	s_load_dwordx8 s[12:19], s[4:5], 0x10
	v_bfe_u32 v28, v0, 10, 10
	s_mov_b32 s24, 0
	s_waitcnt lgkmcnt(0)
	s_ashr_i32 s0, s3, 31
	s_lshr_b32 s0, s0, 29
	s_add_i32 s0, s3, s0
	v_lshlrev_b32_e32 v31, 3, v28
	s_mov_b32 s25, s24
	v_and_b32_e32 v26, 0x3ff, v0
	s_ashr_i32 s9, s0, 3
	s_and_b32 s19, s0, -8
	v_lshl_add_u32 v32, s6, 6, v31
	s_mov_b32 s26, s24
	s_mov_b32 s27, s24
	v_pk_mov_b32 v[0:1], s[24:25], s[24:25] op_sel:[0,1]
	v_cmp_gt_i32_e32 vcc, s19, v32
	v_pk_mov_b32 v[2:3], s[26:27], s[26:27] op_sel:[0,1]
	s_mul_i32 s9, s9, s7
	v_and_b32_e32 v29, 15, v26
	v_lshrrev_b32_e32 v27, 2, v26
	v_lshlrev_b32_e32 v30, 2, v26
	s_and_saveexec_b64 s[4:5], vcc
	s_cbranch_execz .LBB5_268
; %bb.1:
	v_lshl_or_b32 v2, s8, 4, v29
	v_mul_lo_u32 v0, v2, s18
	v_ashrrev_i32_e32 v1, 31, v0
	v_lshlrev_b64 v[0:1], 1, v[0:1]
	v_mov_b32_e32 v4, s21
	v_add_co_u32_e32 v33, vcc, s20, v0
	s_lshl_b32 s0, s2, 5
	v_and_b32_e32 v3, 0xfc, v27
	v_addc_co_u32_e32 v34, vcc, v4, v1, vcc
	s_ashr_i32 s1, s0, 31
	s_lshl_b32 s6, s6, 10
	v_lshlrev_b32_e32 v0, 7, v28
	v_mov_b32_e32 v36, 0
	v_cmp_gt_i32_e32 vcc, s16, v2
	v_lshl_or_b32 v35, s7, 4, v29
	s_lshl_b32 s28, s2, 4
	v_add3_u32 v8, s6, v0, v3
	s_mov_b64 s[10:11], 0
	s_lshl_b64 s[24:25], s[0:1], 1
	v_mov_b32_e32 v37, 0xf000f
	v_mov_b32_e32 v38, 0x43004300
	s_mov_b32 s6, 0x7f800000
	s_movk_i32 s29, 0x7fff
	s_mov_b32 s30, 0x3020706
	v_mov_b32_e32 v0, 0
	v_mov_b32_e32 v1, v36
	;; [unrolled: 1-line block ×4, first 2 shown]
	s_branch .LBB5_3
.LBB5_2:                                ;   in Loop: Header=BB5_3 Depth=1
	s_or_b64 exec, exec, s[26:27]
	v_perm_b32 v69, v39, v40, s30
	v_perm_b32 v68, v4, v9, s30
	;; [unrolled: 1-line block ×4, first 2 shown]
	v_mfma_f32_16x16x16bf16_1k v[68:71], v[12:13], v[68:69], 0
	v_perm_b32 v13, v43, v44, s30
	v_perm_b32 v12, v41, v42, s30
	;; [unrolled: 1-line block ×6, first 2 shown]
	v_add_u32_e32 v32, 64, v32
	v_mfma_f32_16x16x16bf16_1k v[10:13], v[10:11], v[12:13], 0
	s_nop 2
	v_pk_add_f32 v[2:3], v[2:3], v[70:71]
	v_pk_add_f32 v[0:1], v[0:1], v[68:69]
	v_cmp_le_i32_e64 s[0:1], s19, v32
	s_or_b64 s[10:11], s[0:1], s[10:11]
	v_add_u32_e32 v8, 0x400, v8
	s_nop 2
	v_pk_add_f32 v[2:3], v[2:3], v[12:13]
	v_mfma_f32_16x16x16bf16_1k v[40:43], v[20:21], v[40:41], 0
	v_pk_add_f32 v[0:1], v[0:1], v[10:11]
	v_mfma_f32_16x16x16bf16_1k v[18:21], v[18:19], v[4:5], 0
	v_perm_b32 v5, v54, v56, s30
	v_perm_b32 v4, v6, v45, s30
	s_nop 6
	v_pk_add_f32 v[2:3], v[2:3], v[42:43]
	v_pk_add_f32 v[10:11], v[0:1], v[40:41]
	v_mfma_f32_16x16x16bf16_1k v[44:47], v[14:15], v[4:5], 0
	v_perm_b32 v5, v59, v60, s30
	v_perm_b32 v4, v57, v58, s30
	;; [unrolled: 1-line block ×4, first 2 shown]
	v_pk_add_f32 v[12:13], v[2:3], v[20:21]
	v_pk_add_f32 v[10:11], v[10:11], v[18:19]
	s_nop 4
	v_pk_add_f32 v[12:13], v[12:13], v[46:47]
	v_mfma_f32_16x16x16bf16_1k v[4:7], v[24:25], v[4:5], 0
	v_pk_add_f32 v[10:11], v[10:11], v[44:45]
	v_mfma_f32_16x16x16bf16_1k v[0:3], v[22:23], v[14:15], 0
	s_nop 7
	s_nop 0
	v_pk_add_f32 v[6:7], v[12:13], v[6:7]
	v_pk_add_f32 v[4:5], v[10:11], v[4:5]
	;; [unrolled: 1-line block ×4, first 2 shown]
	v_mfma_f32_16x16x16bf16_1k v[0:3], v[16:17], v[48:49], 0
	s_nop 7
	s_nop 2
	v_pk_add_f32 v[2:3], v[6:7], v[2:3]
	v_pk_add_f32 v[0:1], v[4:5], v[0:1]
	s_andn2_b64 exec, exec, s[10:11]
	s_cbranch_execz .LBB5_267
.LBB5_3:                                ; =>This Inner Loop Header: Depth=1
	v_ashrrev_i32_e32 v9, 31, v8
	v_lshlrev_b64 v[4:5], 1, v[8:9]
	v_add_co_u32_e64 v4, s[0:1], v33, v4
	v_addc_co_u32_e64 v5, s[0:1], v34, v5, s[0:1]
	v_mov_b32_e32 v12, 0
	v_mov_b32_e32 v13, 0
	;; [unrolled: 1-line block ×4, first 2 shown]
	s_and_saveexec_b64 s[0:1], vcc
	s_cbranch_execz .LBB5_5
; %bb.4:                                ;   in Loop: Header=BB5_3 Depth=1
	global_load_dwordx2 v[12:13], v[4:5], off
	global_load_dwordx2 v[10:11], v[4:5], off offset:32
.LBB5_5:                                ;   in Loop: Header=BB5_3 Depth=1
	s_or_b64 exec, exec, s[0:1]
	v_mov_b32_e32 v14, 0
	v_mov_b32_e32 v20, 0
	;; [unrolled: 1-line block ×5, first 2 shown]
	s_and_saveexec_b64 s[0:1], vcc
	s_cbranch_execz .LBB5_7
; %bb.6:                                ;   in Loop: Header=BB5_3 Depth=1
	global_load_dwordx2 v[20:21], v[4:5], off offset:64
	global_load_dwordx2 v[18:19], v[4:5], off offset:96
.LBB5_7:                                ;   in Loop: Header=BB5_3 Depth=1
	s_or_b64 exec, exec, s[0:1]
	v_mov_b32_e32 v15, 0
	v_mov_b32_e32 v24, 0
	;; [unrolled: 1-line block ×3, first 2 shown]
	s_and_saveexec_b64 s[0:1], vcc
	s_cbranch_execz .LBB5_9
; %bb.8:                                ;   in Loop: Header=BB5_3 Depth=1
	global_load_dwordx2 v[14:15], v[4:5], off offset:128
	global_load_dwordx2 v[24:25], v[4:5], off offset:160
.LBB5_9:                                ;   in Loop: Header=BB5_3 Depth=1
	s_or_b64 exec, exec, s[0:1]
	v_mov_b32_e32 v22, 0
	v_mov_b32_e32 v23, 0
	;; [unrolled: 1-line block ×4, first 2 shown]
	s_and_saveexec_b64 s[0:1], vcc
	s_cbranch_execz .LBB5_11
; %bb.10:                               ;   in Loop: Header=BB5_3 Depth=1
	global_load_dwordx2 v[22:23], v[4:5], off offset:192
	global_load_dwordx2 v[16:17], v[4:5], off offset:224
.LBB5_11:                               ;   in Loop: Header=BB5_3 Depth=1
	s_or_b64 exec, exec, s[0:1]
	v_lshrrev_b32_e32 v4, 3, v32
	v_add_u32_e32 v4, s9, v4
	v_lshl_add_u32 v4, v4, 8, v30
	v_ashrrev_i32_e32 v5, 31, v4
	v_lshlrev_b64 v[4:5], 2, v[4:5]
	v_ashrrev_i32_e32 v9, 2, v32
	v_mov_b32_e32 v6, s23
	v_add_co_u32_e64 v4, s[0:1], s22, v4
	v_mul_lo_u32 v9, s28, v9
	v_addc_co_u32_e64 v5, s[0:1], v6, v5, s[0:1]
	v_add_lshl_u32 v40, v35, v9, 1
	global_load_dwordx4 v[4:7], v[4:5], off
	v_ashrrev_i32_e32 v41, 31, v40
	v_lshlrev_b64 v[40:41], 1, v[40:41]
	v_mov_b32_e32 v9, s13
	v_add_co_u32_e64 v40, s[0:1], s12, v40
	v_addc_co_u32_e64 v41, s[0:1], v9, v41, s[0:1]
	v_mov_b32_e32 v9, s25
	v_add_co_u32_e64 v42, s[0:1], s24, v40
	v_addc_co_u32_e64 v43, s[0:1], v41, v9, s[0:1]
	global_load_dword v9, v[40:41], off
	global_load_dword v45, v[42:43], off
	s_waitcnt vmcnt(2)
	;;#ASMSTART
	v_and_or_b32 v39, v4, v37, v38
	;;#ASMEND
	v_lshrrev_b32_e32 v40, 4, v4
	v_lshrrev_b32_e32 v42, 8, v4
	;; [unrolled: 1-line block ×3, first 2 shown]
	;;#ASMSTART
	v_and_or_b32 v41, v40, v37, v38
	;;#ASMEND
	;;#ASMSTART
	v_and_or_b32 v43, v42, v37, v38
	;;#ASMEND
	;; [unrolled: 3-line block ×3, first 2 shown]
	v_lshlrev_b32_e32 v4, 16, v39
	v_add_f32_e32 v40, 0xc3080000, v4
	v_and_b32_e32 v4, 0x7f800000, v40
	v_cmp_ne_u32_e64 s[0:1], s6, v4
                                        ; implicit-def: $vgpr4
	s_and_saveexec_b64 s[26:27], s[0:1]
	s_xor_b64 s[0:1], exec, s[26:27]
; %bb.12:                               ;   in Loop: Header=BB5_3 Depth=1
	v_bfe_u32 v4, v40, 16, 1
	v_add3_u32 v4, v40, v4, s29
                                        ; implicit-def: $vgpr40
; %bb.13:                               ;   in Loop: Header=BB5_3 Depth=1
	s_andn2_saveexec_b64 s[26:27], s[0:1]
; %bb.14:                               ;   in Loop: Header=BB5_3 Depth=1
	v_or_b32_e32 v4, 0x10000, v40
	v_cmp_eq_u32_sdwa s[0:1], v40, v36 src0_sel:WORD_0 src1_sel:DWORD
	v_cndmask_b32_e64 v4, v4, v40, s[0:1]
; %bb.15:                               ;   in Loop: Header=BB5_3 Depth=1
	s_or_b64 exec, exec, s[26:27]
	v_and_b32_e32 v39, 0xffff0000, v39
	v_add_f32_e32 v40, 0xc3080000, v39
	v_and_b32_e32 v39, 0x7f800000, v40
	v_cmp_ne_u32_e64 s[0:1], s6, v39
                                        ; implicit-def: $vgpr39
	s_and_saveexec_b64 s[26:27], s[0:1]
	s_xor_b64 s[0:1], exec, s[26:27]
; %bb.16:                               ;   in Loop: Header=BB5_3 Depth=1
	v_bfe_u32 v39, v40, 16, 1
	v_add3_u32 v39, v40, v39, s29
                                        ; implicit-def: $vgpr40
; %bb.17:                               ;   in Loop: Header=BB5_3 Depth=1
	s_andn2_saveexec_b64 s[26:27], s[0:1]
; %bb.18:                               ;   in Loop: Header=BB5_3 Depth=1
	v_or_b32_e32 v39, 0x10000, v40
	v_cmp_eq_u32_sdwa s[0:1], v40, v36 src0_sel:WORD_0 src1_sel:DWORD
	v_cndmask_b32_e64 v39, v39, v40, s[0:1]
; %bb.19:                               ;   in Loop: Header=BB5_3 Depth=1
	s_or_b64 exec, exec, s[26:27]
	v_lshlrev_b32_e32 v40, 16, v41
	v_add_f32_e32 v42, 0xc3080000, v40
	v_and_b32_e32 v40, 0x7f800000, v42
	v_cmp_ne_u32_e64 s[0:1], s6, v40
                                        ; implicit-def: $vgpr40
	s_and_saveexec_b64 s[26:27], s[0:1]
	s_xor_b64 s[0:1], exec, s[26:27]
; %bb.20:                               ;   in Loop: Header=BB5_3 Depth=1
	v_bfe_u32 v40, v42, 16, 1
	v_add3_u32 v40, v42, v40, s29
                                        ; implicit-def: $vgpr42
; %bb.21:                               ;   in Loop: Header=BB5_3 Depth=1
	s_andn2_saveexec_b64 s[26:27], s[0:1]
; %bb.22:                               ;   in Loop: Header=BB5_3 Depth=1
	v_or_b32_e32 v40, 0x10000, v42
	v_cmp_eq_u32_sdwa s[0:1], v42, v36 src0_sel:WORD_0 src1_sel:DWORD
	v_cndmask_b32_e64 v40, v40, v42, s[0:1]
; %bb.23:                               ;   in Loop: Header=BB5_3 Depth=1
	s_or_b64 exec, exec, s[26:27]
	v_and_b32_e32 v41, 0xffff0000, v41
	v_add_f32_e32 v42, 0xc3080000, v41
	v_and_b32_e32 v41, 0x7f800000, v42
	v_cmp_ne_u32_e64 s[0:1], s6, v41
                                        ; implicit-def: $vgpr41
	s_and_saveexec_b64 s[26:27], s[0:1]
	s_xor_b64 s[0:1], exec, s[26:27]
; %bb.24:                               ;   in Loop: Header=BB5_3 Depth=1
	v_bfe_u32 v41, v42, 16, 1
	v_add3_u32 v41, v42, v41, s29
                                        ; implicit-def: $vgpr42
; %bb.25:                               ;   in Loop: Header=BB5_3 Depth=1
	s_andn2_saveexec_b64 s[26:27], s[0:1]
; %bb.26:                               ;   in Loop: Header=BB5_3 Depth=1
	v_or_b32_e32 v41, 0x10000, v42
	v_cmp_eq_u32_sdwa s[0:1], v42, v36 src0_sel:WORD_0 src1_sel:DWORD
	v_cndmask_b32_e64 v41, v41, v42, s[0:1]
; %bb.27:                               ;   in Loop: Header=BB5_3 Depth=1
	s_or_b64 exec, exec, s[26:27]
	v_lshlrev_b32_e32 v42, 16, v43
	v_add_f32_e32 v44, 0xc3080000, v42
	v_and_b32_e32 v42, 0x7f800000, v44
	v_cmp_ne_u32_e64 s[0:1], s6, v42
                                        ; implicit-def: $vgpr42
	s_and_saveexec_b64 s[26:27], s[0:1]
	s_xor_b64 s[0:1], exec, s[26:27]
; %bb.28:                               ;   in Loop: Header=BB5_3 Depth=1
	v_bfe_u32 v42, v44, 16, 1
	v_add3_u32 v42, v44, v42, s29
                                        ; implicit-def: $vgpr44
; %bb.29:                               ;   in Loop: Header=BB5_3 Depth=1
	s_andn2_saveexec_b64 s[26:27], s[0:1]
; %bb.30:                               ;   in Loop: Header=BB5_3 Depth=1
	v_or_b32_e32 v42, 0x10000, v44
	v_cmp_eq_u32_sdwa s[0:1], v44, v36 src0_sel:WORD_0 src1_sel:DWORD
	v_cndmask_b32_e64 v42, v42, v44, s[0:1]
; %bb.31:                               ;   in Loop: Header=BB5_3 Depth=1
	s_or_b64 exec, exec, s[26:27]
	v_and_b32_e32 v43, 0xffff0000, v43
	v_add_f32_e32 v44, 0xc3080000, v43
	v_and_b32_e32 v43, 0x7f800000, v44
	v_cmp_ne_u32_e64 s[0:1], s6, v43
                                        ; implicit-def: $vgpr43
	s_and_saveexec_b64 s[26:27], s[0:1]
	s_xor_b64 s[0:1], exec, s[26:27]
; %bb.32:                               ;   in Loop: Header=BB5_3 Depth=1
	v_bfe_u32 v43, v44, 16, 1
	v_add3_u32 v43, v44, v43, s29
                                        ; implicit-def: $vgpr44
; %bb.33:                               ;   in Loop: Header=BB5_3 Depth=1
	s_andn2_saveexec_b64 s[26:27], s[0:1]
; %bb.34:                               ;   in Loop: Header=BB5_3 Depth=1
	v_or_b32_e32 v43, 0x10000, v44
	v_cmp_eq_u32_sdwa s[0:1], v44, v36 src0_sel:WORD_0 src1_sel:DWORD
	v_cndmask_b32_e64 v43, v43, v44, s[0:1]
; %bb.35:                               ;   in Loop: Header=BB5_3 Depth=1
	s_or_b64 exec, exec, s[26:27]
	v_lshlrev_b32_e32 v44, 16, v46
	v_add_f32_e32 v47, 0xc3080000, v44
	v_and_b32_e32 v44, 0x7f800000, v47
	v_cmp_ne_u32_e64 s[0:1], s6, v44
                                        ; implicit-def: $vgpr44
	s_and_saveexec_b64 s[26:27], s[0:1]
	s_xor_b64 s[0:1], exec, s[26:27]
; %bb.36:                               ;   in Loop: Header=BB5_3 Depth=1
	v_bfe_u32 v44, v47, 16, 1
	v_add3_u32 v44, v47, v44, s29
                                        ; implicit-def: $vgpr47
; %bb.37:                               ;   in Loop: Header=BB5_3 Depth=1
	s_andn2_saveexec_b64 s[26:27], s[0:1]
; %bb.38:                               ;   in Loop: Header=BB5_3 Depth=1
	v_or_b32_e32 v44, 0x10000, v47
	v_cmp_eq_u32_sdwa s[0:1], v47, v36 src0_sel:WORD_0 src1_sel:DWORD
	v_cndmask_b32_e64 v44, v44, v47, s[0:1]
; %bb.39:                               ;   in Loop: Header=BB5_3 Depth=1
	s_or_b64 exec, exec, s[26:27]
	v_and_b32_e32 v46, 0xffff0000, v46
	v_add_f32_e32 v47, 0xc3080000, v46
	v_and_b32_e32 v46, 0x7f800000, v47
	v_cmp_ne_u32_e64 s[0:1], s6, v46
                                        ; implicit-def: $vgpr46
	s_and_saveexec_b64 s[26:27], s[0:1]
	s_xor_b64 s[0:1], exec, s[26:27]
; %bb.40:                               ;   in Loop: Header=BB5_3 Depth=1
	v_bfe_u32 v46, v47, 16, 1
	v_add3_u32 v46, v47, v46, s29
                                        ; implicit-def: $vgpr47
; %bb.41:                               ;   in Loop: Header=BB5_3 Depth=1
	s_andn2_saveexec_b64 s[26:27], s[0:1]
; %bb.42:                               ;   in Loop: Header=BB5_3 Depth=1
	v_or_b32_e32 v46, 0x10000, v47
	v_cmp_eq_u32_sdwa s[0:1], v47, v36 src0_sel:WORD_0 src1_sel:DWORD
	v_cndmask_b32_e64 v46, v46, v47, s[0:1]
; %bb.43:                               ;   in Loop: Header=BB5_3 Depth=1
	s_or_b64 exec, exec, s[26:27]
	v_and_b32_e32 v4, 0xffff0000, v4
	s_waitcnt vmcnt(1)
	v_lshlrev_b32_e32 v52, 16, v9
	v_and_b32_e32 v53, 0xffff0000, v9
	v_fma_f32 v9, v4, v52, v53
	v_and_b32_e32 v4, 0x7f800000, v9
	v_cmp_ne_u32_e64 s[0:1], s6, v4
                                        ; implicit-def: $vgpr4
	s_and_saveexec_b64 s[26:27], s[0:1]
	s_xor_b64 s[0:1], exec, s[26:27]
; %bb.44:                               ;   in Loop: Header=BB5_3 Depth=1
	v_bfe_u32 v4, v9, 16, 1
	v_add3_u32 v4, v9, v4, s29
                                        ; implicit-def: $vgpr9
; %bb.45:                               ;   in Loop: Header=BB5_3 Depth=1
	s_andn2_saveexec_b64 s[26:27], s[0:1]
; %bb.46:                               ;   in Loop: Header=BB5_3 Depth=1
	v_or_b32_e32 v4, 0x10000, v9
	v_cmp_eq_u32_sdwa s[0:1], v9, v36 src0_sel:WORD_0 src1_sel:DWORD
	v_cndmask_b32_e64 v4, v4, v9, s[0:1]
; %bb.47:                               ;   in Loop: Header=BB5_3 Depth=1
	s_or_b64 exec, exec, s[26:27]
	v_and_b32_e32 v9, 0xffff0000, v39
	v_fma_f32 v39, v9, v52, v53
	v_and_b32_e32 v9, 0x7f800000, v39
	v_cmp_ne_u32_e64 s[0:1], s6, v9
                                        ; implicit-def: $vgpr9
	s_and_saveexec_b64 s[26:27], s[0:1]
	s_xor_b64 s[0:1], exec, s[26:27]
; %bb.48:                               ;   in Loop: Header=BB5_3 Depth=1
	v_bfe_u32 v9, v39, 16, 1
	v_add3_u32 v9, v39, v9, s29
                                        ; implicit-def: $vgpr39
; %bb.49:                               ;   in Loop: Header=BB5_3 Depth=1
	s_andn2_saveexec_b64 s[26:27], s[0:1]
; %bb.50:                               ;   in Loop: Header=BB5_3 Depth=1
	v_or_b32_e32 v9, 0x10000, v39
	v_cmp_eq_u32_sdwa s[0:1], v39, v36 src0_sel:WORD_0 src1_sel:DWORD
	v_cndmask_b32_e64 v9, v9, v39, s[0:1]
; %bb.51:                               ;   in Loop: Header=BB5_3 Depth=1
	s_or_b64 exec, exec, s[26:27]
	v_and_b32_e32 v39, 0xffff0000, v40
	v_fma_f32 v40, v39, v52, v53
	v_and_b32_e32 v39, 0x7f800000, v40
	v_cmp_ne_u32_e64 s[0:1], s6, v39
                                        ; implicit-def: $vgpr39
	s_and_saveexec_b64 s[26:27], s[0:1]
	s_xor_b64 s[0:1], exec, s[26:27]
; %bb.52:                               ;   in Loop: Header=BB5_3 Depth=1
	v_bfe_u32 v39, v40, 16, 1
	v_add3_u32 v39, v40, v39, s29
                                        ; implicit-def: $vgpr40
; %bb.53:                               ;   in Loop: Header=BB5_3 Depth=1
	s_andn2_saveexec_b64 s[26:27], s[0:1]
; %bb.54:                               ;   in Loop: Header=BB5_3 Depth=1
	v_or_b32_e32 v39, 0x10000, v40
	v_cmp_eq_u32_sdwa s[0:1], v40, v36 src0_sel:WORD_0 src1_sel:DWORD
	v_cndmask_b32_e64 v39, v39, v40, s[0:1]
; %bb.55:                               ;   in Loop: Header=BB5_3 Depth=1
	s_or_b64 exec, exec, s[26:27]
	v_and_b32_e32 v40, 0xffff0000, v41
	v_fma_f32 v41, v40, v52, v53
	v_and_b32_e32 v40, 0x7f800000, v41
	v_cmp_ne_u32_e64 s[0:1], s6, v40
                                        ; implicit-def: $vgpr40
	s_and_saveexec_b64 s[26:27], s[0:1]
	s_xor_b64 s[0:1], exec, s[26:27]
; %bb.56:                               ;   in Loop: Header=BB5_3 Depth=1
	v_bfe_u32 v40, v41, 16, 1
	v_add3_u32 v40, v41, v40, s29
                                        ; implicit-def: $vgpr41
; %bb.57:                               ;   in Loop: Header=BB5_3 Depth=1
	s_andn2_saveexec_b64 s[26:27], s[0:1]
; %bb.58:                               ;   in Loop: Header=BB5_3 Depth=1
	v_or_b32_e32 v40, 0x10000, v41
	v_cmp_eq_u32_sdwa s[0:1], v41, v36 src0_sel:WORD_0 src1_sel:DWORD
	v_cndmask_b32_e64 v40, v40, v41, s[0:1]
; %bb.59:                               ;   in Loop: Header=BB5_3 Depth=1
	s_or_b64 exec, exec, s[26:27]
	v_and_b32_e32 v41, 0xffff0000, v42
	v_fma_f32 v42, v41, v52, v53
	v_and_b32_e32 v41, 0x7f800000, v42
	v_cmp_ne_u32_e64 s[0:1], s6, v41
                                        ; implicit-def: $vgpr41
	s_and_saveexec_b64 s[26:27], s[0:1]
	s_xor_b64 s[0:1], exec, s[26:27]
; %bb.60:                               ;   in Loop: Header=BB5_3 Depth=1
	v_bfe_u32 v41, v42, 16, 1
	v_add3_u32 v41, v42, v41, s29
                                        ; implicit-def: $vgpr42
; %bb.61:                               ;   in Loop: Header=BB5_3 Depth=1
	s_andn2_saveexec_b64 s[26:27], s[0:1]
; %bb.62:                               ;   in Loop: Header=BB5_3 Depth=1
	v_or_b32_e32 v41, 0x10000, v42
	v_cmp_eq_u32_sdwa s[0:1], v42, v36 src0_sel:WORD_0 src1_sel:DWORD
	v_cndmask_b32_e64 v41, v41, v42, s[0:1]
; %bb.63:                               ;   in Loop: Header=BB5_3 Depth=1
	s_or_b64 exec, exec, s[26:27]
	v_and_b32_e32 v42, 0xffff0000, v43
	v_fma_f32 v43, v42, v52, v53
	v_and_b32_e32 v42, 0x7f800000, v43
	v_cmp_ne_u32_e64 s[0:1], s6, v42
                                        ; implicit-def: $vgpr42
	s_and_saveexec_b64 s[26:27], s[0:1]
	s_xor_b64 s[0:1], exec, s[26:27]
; %bb.64:                               ;   in Loop: Header=BB5_3 Depth=1
	v_bfe_u32 v42, v43, 16, 1
	v_add3_u32 v42, v43, v42, s29
                                        ; implicit-def: $vgpr43
; %bb.65:                               ;   in Loop: Header=BB5_3 Depth=1
	s_andn2_saveexec_b64 s[26:27], s[0:1]
; %bb.66:                               ;   in Loop: Header=BB5_3 Depth=1
	v_or_b32_e32 v42, 0x10000, v43
	v_cmp_eq_u32_sdwa s[0:1], v43, v36 src0_sel:WORD_0 src1_sel:DWORD
	v_cndmask_b32_e64 v42, v42, v43, s[0:1]
; %bb.67:                               ;   in Loop: Header=BB5_3 Depth=1
	s_or_b64 exec, exec, s[26:27]
	v_and_b32_e32 v43, 0xffff0000, v44
	v_fma_f32 v44, v43, v52, v53
	v_and_b32_e32 v43, 0x7f800000, v44
	v_cmp_ne_u32_e64 s[0:1], s6, v43
                                        ; implicit-def: $vgpr43
	s_and_saveexec_b64 s[26:27], s[0:1]
	s_xor_b64 s[0:1], exec, s[26:27]
; %bb.68:                               ;   in Loop: Header=BB5_3 Depth=1
	v_bfe_u32 v43, v44, 16, 1
	v_add3_u32 v43, v44, v43, s29
                                        ; implicit-def: $vgpr44
; %bb.69:                               ;   in Loop: Header=BB5_3 Depth=1
	s_andn2_saveexec_b64 s[26:27], s[0:1]
; %bb.70:                               ;   in Loop: Header=BB5_3 Depth=1
	v_or_b32_e32 v43, 0x10000, v44
	v_cmp_eq_u32_sdwa s[0:1], v44, v36 src0_sel:WORD_0 src1_sel:DWORD
	v_cndmask_b32_e64 v43, v43, v44, s[0:1]
; %bb.71:                               ;   in Loop: Header=BB5_3 Depth=1
	s_or_b64 exec, exec, s[26:27]
	v_and_b32_e32 v44, 0xffff0000, v46
	v_fma_f32 v46, v44, v52, v53
	v_and_b32_e32 v44, 0x7f800000, v46
	v_cmp_ne_u32_e64 s[0:1], s6, v44
                                        ; implicit-def: $vgpr44
	s_and_saveexec_b64 s[26:27], s[0:1]
	s_xor_b64 s[0:1], exec, s[26:27]
; %bb.72:                               ;   in Loop: Header=BB5_3 Depth=1
	v_bfe_u32 v44, v46, 16, 1
	v_add3_u32 v44, v46, v44, s29
                                        ; implicit-def: $vgpr46
; %bb.73:                               ;   in Loop: Header=BB5_3 Depth=1
	s_andn2_saveexec_b64 s[26:27], s[0:1]
; %bb.74:                               ;   in Loop: Header=BB5_3 Depth=1
	v_or_b32_e32 v44, 0x10000, v46
	v_cmp_eq_u32_sdwa s[0:1], v46, v36 src0_sel:WORD_0 src1_sel:DWORD
	v_cndmask_b32_e64 v44, v44, v46, s[0:1]
; %bb.75:                               ;   in Loop: Header=BB5_3 Depth=1
	s_or_b64 exec, exec, s[26:27]
	v_lshrrev_b32_e32 v47, 4, v5
	;;#ASMSTART
	v_and_or_b32 v46, v5, v37, v38
	;;#ASMEND
	;;#ASMSTART
	v_and_or_b32 v48, v47, v37, v38
	;;#ASMEND
	v_lshrrev_b32_e32 v47, 8, v5
	v_lshrrev_b32_e32 v5, 12, v5
	;;#ASMSTART
	v_and_or_b32 v50, v47, v37, v38
	;;#ASMEND
	;;#ASMSTART
	v_and_or_b32 v54, v5, v37, v38
	;;#ASMEND
	v_lshlrev_b32_e32 v5, 16, v46
	v_add_f32_e32 v47, 0xc3080000, v5
	v_and_b32_e32 v5, 0x7f800000, v47
	v_cmp_ne_u32_e64 s[0:1], s6, v5
                                        ; implicit-def: $vgpr5
	s_and_saveexec_b64 s[26:27], s[0:1]
	s_xor_b64 s[0:1], exec, s[26:27]
; %bb.76:                               ;   in Loop: Header=BB5_3 Depth=1
	v_bfe_u32 v5, v47, 16, 1
	v_add3_u32 v5, v47, v5, s29
                                        ; implicit-def: $vgpr47
; %bb.77:                               ;   in Loop: Header=BB5_3 Depth=1
	s_andn2_saveexec_b64 s[26:27], s[0:1]
; %bb.78:                               ;   in Loop: Header=BB5_3 Depth=1
	v_or_b32_e32 v5, 0x10000, v47
	v_cmp_eq_u32_sdwa s[0:1], v47, v36 src0_sel:WORD_0 src1_sel:DWORD
	v_cndmask_b32_e64 v5, v5, v47, s[0:1]
; %bb.79:                               ;   in Loop: Header=BB5_3 Depth=1
	s_or_b64 exec, exec, s[26:27]
	v_and_b32_e32 v46, 0xffff0000, v46
	v_add_f32_e32 v47, 0xc3080000, v46
	v_and_b32_e32 v46, 0x7f800000, v47
	v_cmp_ne_u32_e64 s[0:1], s6, v46
                                        ; implicit-def: $vgpr46
	s_and_saveexec_b64 s[26:27], s[0:1]
	s_xor_b64 s[0:1], exec, s[26:27]
; %bb.80:                               ;   in Loop: Header=BB5_3 Depth=1
	v_bfe_u32 v46, v47, 16, 1
	v_add3_u32 v46, v47, v46, s29
                                        ; implicit-def: $vgpr47
; %bb.81:                               ;   in Loop: Header=BB5_3 Depth=1
	s_andn2_saveexec_b64 s[26:27], s[0:1]
; %bb.82:                               ;   in Loop: Header=BB5_3 Depth=1
	v_or_b32_e32 v46, 0x10000, v47
	v_cmp_eq_u32_sdwa s[0:1], v47, v36 src0_sel:WORD_0 src1_sel:DWORD
	v_cndmask_b32_e64 v46, v46, v47, s[0:1]
; %bb.83:                               ;   in Loop: Header=BB5_3 Depth=1
	s_or_b64 exec, exec, s[26:27]
	v_lshlrev_b32_e32 v47, 16, v48
	v_add_f32_e32 v49, 0xc3080000, v47
	v_and_b32_e32 v47, 0x7f800000, v49
	v_cmp_ne_u32_e64 s[0:1], s6, v47
                                        ; implicit-def: $vgpr47
	s_and_saveexec_b64 s[26:27], s[0:1]
	s_xor_b64 s[0:1], exec, s[26:27]
; %bb.84:                               ;   in Loop: Header=BB5_3 Depth=1
	v_bfe_u32 v47, v49, 16, 1
	v_add3_u32 v47, v49, v47, s29
                                        ; implicit-def: $vgpr49
; %bb.85:                               ;   in Loop: Header=BB5_3 Depth=1
	s_andn2_saveexec_b64 s[26:27], s[0:1]
; %bb.86:                               ;   in Loop: Header=BB5_3 Depth=1
	v_or_b32_e32 v47, 0x10000, v49
	v_cmp_eq_u32_sdwa s[0:1], v49, v36 src0_sel:WORD_0 src1_sel:DWORD
	v_cndmask_b32_e64 v47, v47, v49, s[0:1]
; %bb.87:                               ;   in Loop: Header=BB5_3 Depth=1
	s_or_b64 exec, exec, s[26:27]
	v_and_b32_e32 v48, 0xffff0000, v48
	v_add_f32_e32 v49, 0xc3080000, v48
	v_and_b32_e32 v48, 0x7f800000, v49
	v_cmp_ne_u32_e64 s[0:1], s6, v48
                                        ; implicit-def: $vgpr48
	s_and_saveexec_b64 s[26:27], s[0:1]
	s_xor_b64 s[0:1], exec, s[26:27]
; %bb.88:                               ;   in Loop: Header=BB5_3 Depth=1
	v_bfe_u32 v48, v49, 16, 1
	v_add3_u32 v48, v49, v48, s29
                                        ; implicit-def: $vgpr49
; %bb.89:                               ;   in Loop: Header=BB5_3 Depth=1
	s_andn2_saveexec_b64 s[26:27], s[0:1]
; %bb.90:                               ;   in Loop: Header=BB5_3 Depth=1
	v_or_b32_e32 v48, 0x10000, v49
	v_cmp_eq_u32_sdwa s[0:1], v49, v36 src0_sel:WORD_0 src1_sel:DWORD
	v_cndmask_b32_e64 v48, v48, v49, s[0:1]
; %bb.91:                               ;   in Loop: Header=BB5_3 Depth=1
	s_or_b64 exec, exec, s[26:27]
	v_lshlrev_b32_e32 v49, 16, v50
	v_add_f32_e32 v51, 0xc3080000, v49
	v_and_b32_e32 v49, 0x7f800000, v51
	v_cmp_ne_u32_e64 s[0:1], s6, v49
                                        ; implicit-def: $vgpr49
	s_and_saveexec_b64 s[26:27], s[0:1]
	s_xor_b64 s[0:1], exec, s[26:27]
; %bb.92:                               ;   in Loop: Header=BB5_3 Depth=1
	v_bfe_u32 v49, v51, 16, 1
	v_add3_u32 v49, v51, v49, s29
                                        ; implicit-def: $vgpr51
; %bb.93:                               ;   in Loop: Header=BB5_3 Depth=1
	s_andn2_saveexec_b64 s[26:27], s[0:1]
; %bb.94:                               ;   in Loop: Header=BB5_3 Depth=1
	v_or_b32_e32 v49, 0x10000, v51
	v_cmp_eq_u32_sdwa s[0:1], v51, v36 src0_sel:WORD_0 src1_sel:DWORD
	v_cndmask_b32_e64 v49, v49, v51, s[0:1]
; %bb.95:                               ;   in Loop: Header=BB5_3 Depth=1
	s_or_b64 exec, exec, s[26:27]
	v_and_b32_e32 v50, 0xffff0000, v50
	v_add_f32_e32 v51, 0xc3080000, v50
	v_and_b32_e32 v50, 0x7f800000, v51
	v_cmp_ne_u32_e64 s[0:1], s6, v50
                                        ; implicit-def: $vgpr50
	s_and_saveexec_b64 s[26:27], s[0:1]
	s_xor_b64 s[0:1], exec, s[26:27]
; %bb.96:                               ;   in Loop: Header=BB5_3 Depth=1
	v_bfe_u32 v50, v51, 16, 1
	v_add3_u32 v50, v51, v50, s29
                                        ; implicit-def: $vgpr51
; %bb.97:                               ;   in Loop: Header=BB5_3 Depth=1
	s_andn2_saveexec_b64 s[26:27], s[0:1]
; %bb.98:                               ;   in Loop: Header=BB5_3 Depth=1
	v_or_b32_e32 v50, 0x10000, v51
	v_cmp_eq_u32_sdwa s[0:1], v51, v36 src0_sel:WORD_0 src1_sel:DWORD
	v_cndmask_b32_e64 v50, v50, v51, s[0:1]
; %bb.99:                               ;   in Loop: Header=BB5_3 Depth=1
	s_or_b64 exec, exec, s[26:27]
	v_lshlrev_b32_e32 v51, 16, v54
	v_add_f32_e32 v55, 0xc3080000, v51
	v_and_b32_e32 v51, 0x7f800000, v55
	v_cmp_ne_u32_e64 s[0:1], s6, v51
                                        ; implicit-def: $vgpr51
	s_and_saveexec_b64 s[26:27], s[0:1]
	s_xor_b64 s[0:1], exec, s[26:27]
; %bb.100:                              ;   in Loop: Header=BB5_3 Depth=1
	v_bfe_u32 v51, v55, 16, 1
	v_add3_u32 v51, v55, v51, s29
                                        ; implicit-def: $vgpr55
; %bb.101:                              ;   in Loop: Header=BB5_3 Depth=1
	s_andn2_saveexec_b64 s[26:27], s[0:1]
; %bb.102:                              ;   in Loop: Header=BB5_3 Depth=1
	v_or_b32_e32 v51, 0x10000, v55
	v_cmp_eq_u32_sdwa s[0:1], v55, v36 src0_sel:WORD_0 src1_sel:DWORD
	v_cndmask_b32_e64 v51, v51, v55, s[0:1]
; %bb.103:                              ;   in Loop: Header=BB5_3 Depth=1
	s_or_b64 exec, exec, s[26:27]
	v_and_b32_e32 v54, 0xffff0000, v54
	v_add_f32_e32 v55, 0xc3080000, v54
	v_and_b32_e32 v54, 0x7f800000, v55
	v_cmp_ne_u32_e64 s[0:1], s6, v54
                                        ; implicit-def: $vgpr54
	s_and_saveexec_b64 s[26:27], s[0:1]
	s_xor_b64 s[0:1], exec, s[26:27]
; %bb.104:                              ;   in Loop: Header=BB5_3 Depth=1
	v_bfe_u32 v54, v55, 16, 1
	v_add3_u32 v54, v55, v54, s29
                                        ; implicit-def: $vgpr55
; %bb.105:                              ;   in Loop: Header=BB5_3 Depth=1
	s_andn2_saveexec_b64 s[26:27], s[0:1]
; %bb.106:                              ;   in Loop: Header=BB5_3 Depth=1
	v_or_b32_e32 v54, 0x10000, v55
	v_cmp_eq_u32_sdwa s[0:1], v55, v36 src0_sel:WORD_0 src1_sel:DWORD
	v_cndmask_b32_e64 v54, v54, v55, s[0:1]
; %bb.107:                              ;   in Loop: Header=BB5_3 Depth=1
	s_or_b64 exec, exec, s[26:27]
	v_and_b32_e32 v5, 0xffff0000, v5
	v_fma_f32 v55, v5, v52, v53
	v_and_b32_e32 v5, 0x7f800000, v55
	v_cmp_ne_u32_e64 s[0:1], s6, v5
                                        ; implicit-def: $vgpr5
	s_and_saveexec_b64 s[26:27], s[0:1]
	s_xor_b64 s[0:1], exec, s[26:27]
; %bb.108:                              ;   in Loop: Header=BB5_3 Depth=1
	v_bfe_u32 v5, v55, 16, 1
	v_add3_u32 v5, v55, v5, s29
                                        ; implicit-def: $vgpr55
; %bb.109:                              ;   in Loop: Header=BB5_3 Depth=1
	s_andn2_saveexec_b64 s[26:27], s[0:1]
; %bb.110:                              ;   in Loop: Header=BB5_3 Depth=1
	v_or_b32_e32 v5, 0x10000, v55
	v_cmp_eq_u32_sdwa s[0:1], v55, v36 src0_sel:WORD_0 src1_sel:DWORD
	v_cndmask_b32_e64 v5, v5, v55, s[0:1]
; %bb.111:                              ;   in Loop: Header=BB5_3 Depth=1
	s_or_b64 exec, exec, s[26:27]
	v_and_b32_e32 v46, 0xffff0000, v46
	v_fma_f32 v55, v46, v52, v53
	v_and_b32_e32 v46, 0x7f800000, v55
	v_cmp_ne_u32_e64 s[0:1], s6, v46
                                        ; implicit-def: $vgpr46
	s_and_saveexec_b64 s[26:27], s[0:1]
	s_xor_b64 s[0:1], exec, s[26:27]
; %bb.112:                              ;   in Loop: Header=BB5_3 Depth=1
	v_bfe_u32 v46, v55, 16, 1
	v_add3_u32 v46, v55, v46, s29
                                        ; implicit-def: $vgpr55
; %bb.113:                              ;   in Loop: Header=BB5_3 Depth=1
	s_andn2_saveexec_b64 s[26:27], s[0:1]
; %bb.114:                              ;   in Loop: Header=BB5_3 Depth=1
	v_or_b32_e32 v46, 0x10000, v55
	v_cmp_eq_u32_sdwa s[0:1], v55, v36 src0_sel:WORD_0 src1_sel:DWORD
	v_cndmask_b32_e64 v46, v46, v55, s[0:1]
; %bb.115:                              ;   in Loop: Header=BB5_3 Depth=1
	s_or_b64 exec, exec, s[26:27]
	v_and_b32_e32 v47, 0xffff0000, v47
	v_fma_f32 v55, v47, v52, v53
	v_and_b32_e32 v47, 0x7f800000, v55
	v_cmp_ne_u32_e64 s[0:1], s6, v47
                                        ; implicit-def: $vgpr47
	s_and_saveexec_b64 s[26:27], s[0:1]
	s_xor_b64 s[0:1], exec, s[26:27]
; %bb.116:                              ;   in Loop: Header=BB5_3 Depth=1
	v_bfe_u32 v47, v55, 16, 1
	v_add3_u32 v47, v55, v47, s29
                                        ; implicit-def: $vgpr55
; %bb.117:                              ;   in Loop: Header=BB5_3 Depth=1
	s_andn2_saveexec_b64 s[26:27], s[0:1]
; %bb.118:                              ;   in Loop: Header=BB5_3 Depth=1
	v_or_b32_e32 v47, 0x10000, v55
	v_cmp_eq_u32_sdwa s[0:1], v55, v36 src0_sel:WORD_0 src1_sel:DWORD
	v_cndmask_b32_e64 v47, v47, v55, s[0:1]
; %bb.119:                              ;   in Loop: Header=BB5_3 Depth=1
	s_or_b64 exec, exec, s[26:27]
	v_and_b32_e32 v48, 0xffff0000, v48
	v_fma_f32 v55, v48, v52, v53
	v_and_b32_e32 v48, 0x7f800000, v55
	v_cmp_ne_u32_e64 s[0:1], s6, v48
                                        ; implicit-def: $vgpr48
	s_and_saveexec_b64 s[26:27], s[0:1]
	s_xor_b64 s[0:1], exec, s[26:27]
; %bb.120:                              ;   in Loop: Header=BB5_3 Depth=1
	v_bfe_u32 v48, v55, 16, 1
	v_add3_u32 v48, v55, v48, s29
                                        ; implicit-def: $vgpr55
; %bb.121:                              ;   in Loop: Header=BB5_3 Depth=1
	s_andn2_saveexec_b64 s[26:27], s[0:1]
; %bb.122:                              ;   in Loop: Header=BB5_3 Depth=1
	v_or_b32_e32 v48, 0x10000, v55
	v_cmp_eq_u32_sdwa s[0:1], v55, v36 src0_sel:WORD_0 src1_sel:DWORD
	v_cndmask_b32_e64 v48, v48, v55, s[0:1]
; %bb.123:                              ;   in Loop: Header=BB5_3 Depth=1
	s_or_b64 exec, exec, s[26:27]
	v_and_b32_e32 v49, 0xffff0000, v49
	v_fma_f32 v55, v49, v52, v53
	v_and_b32_e32 v49, 0x7f800000, v55
	v_cmp_ne_u32_e64 s[0:1], s6, v49
                                        ; implicit-def: $vgpr49
	s_and_saveexec_b64 s[26:27], s[0:1]
	s_xor_b64 s[0:1], exec, s[26:27]
; %bb.124:                              ;   in Loop: Header=BB5_3 Depth=1
	v_bfe_u32 v49, v55, 16, 1
	v_add3_u32 v49, v55, v49, s29
                                        ; implicit-def: $vgpr55
; %bb.125:                              ;   in Loop: Header=BB5_3 Depth=1
	s_andn2_saveexec_b64 s[26:27], s[0:1]
; %bb.126:                              ;   in Loop: Header=BB5_3 Depth=1
	v_or_b32_e32 v49, 0x10000, v55
	v_cmp_eq_u32_sdwa s[0:1], v55, v36 src0_sel:WORD_0 src1_sel:DWORD
	v_cndmask_b32_e64 v49, v49, v55, s[0:1]
; %bb.127:                              ;   in Loop: Header=BB5_3 Depth=1
	s_or_b64 exec, exec, s[26:27]
	v_and_b32_e32 v50, 0xffff0000, v50
	v_fma_f32 v55, v50, v52, v53
	v_and_b32_e32 v50, 0x7f800000, v55
	v_cmp_ne_u32_e64 s[0:1], s6, v50
                                        ; implicit-def: $vgpr50
	s_and_saveexec_b64 s[26:27], s[0:1]
	s_xor_b64 s[0:1], exec, s[26:27]
; %bb.128:                              ;   in Loop: Header=BB5_3 Depth=1
	v_bfe_u32 v50, v55, 16, 1
	v_add3_u32 v50, v55, v50, s29
                                        ; implicit-def: $vgpr55
; %bb.129:                              ;   in Loop: Header=BB5_3 Depth=1
	s_andn2_saveexec_b64 s[26:27], s[0:1]
; %bb.130:                              ;   in Loop: Header=BB5_3 Depth=1
	v_or_b32_e32 v50, 0x10000, v55
	v_cmp_eq_u32_sdwa s[0:1], v55, v36 src0_sel:WORD_0 src1_sel:DWORD
	v_cndmask_b32_e64 v50, v50, v55, s[0:1]
; %bb.131:                              ;   in Loop: Header=BB5_3 Depth=1
	s_or_b64 exec, exec, s[26:27]
	v_and_b32_e32 v51, 0xffff0000, v51
	v_fma_f32 v55, v51, v52, v53
	v_and_b32_e32 v51, 0x7f800000, v55
	v_cmp_ne_u32_e64 s[0:1], s6, v51
                                        ; implicit-def: $vgpr51
	s_and_saveexec_b64 s[26:27], s[0:1]
	s_xor_b64 s[0:1], exec, s[26:27]
; %bb.132:                              ;   in Loop: Header=BB5_3 Depth=1
	v_bfe_u32 v51, v55, 16, 1
	v_add3_u32 v51, v55, v51, s29
                                        ; implicit-def: $vgpr55
; %bb.133:                              ;   in Loop: Header=BB5_3 Depth=1
	s_andn2_saveexec_b64 s[26:27], s[0:1]
; %bb.134:                              ;   in Loop: Header=BB5_3 Depth=1
	v_or_b32_e32 v51, 0x10000, v55
	v_cmp_eq_u32_sdwa s[0:1], v55, v36 src0_sel:WORD_0 src1_sel:DWORD
	v_cndmask_b32_e64 v51, v51, v55, s[0:1]
; %bb.135:                              ;   in Loop: Header=BB5_3 Depth=1
	s_or_b64 exec, exec, s[26:27]
	v_and_b32_e32 v54, 0xffff0000, v54
	v_fmac_f32_e32 v53, v54, v52
	v_and_b32_e32 v52, 0x7f800000, v53
	v_cmp_ne_u32_e64 s[0:1], s6, v52
                                        ; implicit-def: $vgpr52
	s_and_saveexec_b64 s[26:27], s[0:1]
	s_xor_b64 s[0:1], exec, s[26:27]
; %bb.136:                              ;   in Loop: Header=BB5_3 Depth=1
	v_bfe_u32 v52, v53, 16, 1
	v_add3_u32 v52, v53, v52, s29
                                        ; implicit-def: $vgpr53
; %bb.137:                              ;   in Loop: Header=BB5_3 Depth=1
	s_andn2_saveexec_b64 s[26:27], s[0:1]
; %bb.138:                              ;   in Loop: Header=BB5_3 Depth=1
	v_or_b32_e32 v52, 0x10000, v53
	v_cmp_eq_u32_sdwa s[0:1], v53, v36 src0_sel:WORD_0 src1_sel:DWORD
	v_cndmask_b32_e64 v52, v52, v53, s[0:1]
; %bb.139:                              ;   in Loop: Header=BB5_3 Depth=1
	s_or_b64 exec, exec, s[26:27]
	v_lshrrev_b32_e32 v53, 4, v6
	;;#ASMSTART
	v_and_or_b32 v54, v6, v37, v38
	;;#ASMEND
	;;#ASMSTART
	v_and_or_b32 v57, v53, v37, v38
	;;#ASMEND
	v_lshrrev_b32_e32 v53, 8, v6
	v_lshrrev_b32_e32 v6, 12, v6
	;;#ASMSTART
	v_and_or_b32 v55, v53, v37, v38
	;;#ASMEND
	;;#ASMSTART
	v_and_or_b32 v53, v6, v37, v38
	;;#ASMEND
	v_lshlrev_b32_e32 v6, 16, v54
	v_add_f32_e32 v56, 0xc3080000, v6
	v_and_b32_e32 v6, 0x7f800000, v56
	v_cmp_ne_u32_e64 s[0:1], s6, v6
                                        ; implicit-def: $vgpr6
	s_and_saveexec_b64 s[26:27], s[0:1]
	s_xor_b64 s[0:1], exec, s[26:27]
; %bb.140:                              ;   in Loop: Header=BB5_3 Depth=1
	v_bfe_u32 v6, v56, 16, 1
	v_add3_u32 v6, v56, v6, s29
                                        ; implicit-def: $vgpr56
; %bb.141:                              ;   in Loop: Header=BB5_3 Depth=1
	s_andn2_saveexec_b64 s[26:27], s[0:1]
; %bb.142:                              ;   in Loop: Header=BB5_3 Depth=1
	v_or_b32_e32 v6, 0x10000, v56
	v_cmp_eq_u32_sdwa s[0:1], v56, v36 src0_sel:WORD_0 src1_sel:DWORD
	v_cndmask_b32_e64 v6, v6, v56, s[0:1]
; %bb.143:                              ;   in Loop: Header=BB5_3 Depth=1
	s_or_b64 exec, exec, s[26:27]
	v_and_b32_e32 v54, 0xffff0000, v54
	v_add_f32_e32 v56, 0xc3080000, v54
	v_and_b32_e32 v54, 0x7f800000, v56
	v_cmp_ne_u32_e64 s[0:1], s6, v54
                                        ; implicit-def: $vgpr54
	s_and_saveexec_b64 s[26:27], s[0:1]
	s_xor_b64 s[0:1], exec, s[26:27]
; %bb.144:                              ;   in Loop: Header=BB5_3 Depth=1
	v_bfe_u32 v54, v56, 16, 1
	v_add3_u32 v54, v56, v54, s29
                                        ; implicit-def: $vgpr56
; %bb.145:                              ;   in Loop: Header=BB5_3 Depth=1
	s_andn2_saveexec_b64 s[26:27], s[0:1]
; %bb.146:                              ;   in Loop: Header=BB5_3 Depth=1
	v_or_b32_e32 v54, 0x10000, v56
	v_cmp_eq_u32_sdwa s[0:1], v56, v36 src0_sel:WORD_0 src1_sel:DWORD
	v_cndmask_b32_e64 v54, v54, v56, s[0:1]
; %bb.147:                              ;   in Loop: Header=BB5_3 Depth=1
	s_or_b64 exec, exec, s[26:27]
	v_lshlrev_b32_e32 v56, 16, v57
	v_add_f32_e32 v58, 0xc3080000, v56
	v_and_b32_e32 v56, 0x7f800000, v58
	v_cmp_ne_u32_e64 s[0:1], s6, v56
                                        ; implicit-def: $vgpr56
	s_and_saveexec_b64 s[26:27], s[0:1]
	s_xor_b64 s[0:1], exec, s[26:27]
; %bb.148:                              ;   in Loop: Header=BB5_3 Depth=1
	v_bfe_u32 v56, v58, 16, 1
	v_add3_u32 v56, v58, v56, s29
                                        ; implicit-def: $vgpr58
; %bb.149:                              ;   in Loop: Header=BB5_3 Depth=1
	s_andn2_saveexec_b64 s[26:27], s[0:1]
; %bb.150:                              ;   in Loop: Header=BB5_3 Depth=1
	v_or_b32_e32 v56, 0x10000, v58
	v_cmp_eq_u32_sdwa s[0:1], v58, v36 src0_sel:WORD_0 src1_sel:DWORD
	v_cndmask_b32_e64 v56, v56, v58, s[0:1]
; %bb.151:                              ;   in Loop: Header=BB5_3 Depth=1
	s_or_b64 exec, exec, s[26:27]
	v_and_b32_e32 v57, 0xffff0000, v57
	v_add_f32_e32 v58, 0xc3080000, v57
	v_and_b32_e32 v57, 0x7f800000, v58
	v_cmp_ne_u32_e64 s[0:1], s6, v57
                                        ; implicit-def: $vgpr57
	s_and_saveexec_b64 s[26:27], s[0:1]
	s_xor_b64 s[0:1], exec, s[26:27]
; %bb.152:                              ;   in Loop: Header=BB5_3 Depth=1
	v_bfe_u32 v57, v58, 16, 1
	v_add3_u32 v57, v58, v57, s29
                                        ; implicit-def: $vgpr58
; %bb.153:                              ;   in Loop: Header=BB5_3 Depth=1
	s_andn2_saveexec_b64 s[26:27], s[0:1]
; %bb.154:                              ;   in Loop: Header=BB5_3 Depth=1
	v_or_b32_e32 v57, 0x10000, v58
	v_cmp_eq_u32_sdwa s[0:1], v58, v36 src0_sel:WORD_0 src1_sel:DWORD
	v_cndmask_b32_e64 v57, v57, v58, s[0:1]
; %bb.155:                              ;   in Loop: Header=BB5_3 Depth=1
	s_or_b64 exec, exec, s[26:27]
	v_lshlrev_b32_e32 v58, 16, v55
	v_add_f32_e32 v59, 0xc3080000, v58
	v_and_b32_e32 v58, 0x7f800000, v59
	v_cmp_ne_u32_e64 s[0:1], s6, v58
                                        ; implicit-def: $vgpr58
	s_and_saveexec_b64 s[26:27], s[0:1]
	s_xor_b64 s[0:1], exec, s[26:27]
; %bb.156:                              ;   in Loop: Header=BB5_3 Depth=1
	v_bfe_u32 v58, v59, 16, 1
	v_add3_u32 v58, v59, v58, s29
                                        ; implicit-def: $vgpr59
; %bb.157:                              ;   in Loop: Header=BB5_3 Depth=1
	s_andn2_saveexec_b64 s[26:27], s[0:1]
; %bb.158:                              ;   in Loop: Header=BB5_3 Depth=1
	v_or_b32_e32 v58, 0x10000, v59
	v_cmp_eq_u32_sdwa s[0:1], v59, v36 src0_sel:WORD_0 src1_sel:DWORD
	v_cndmask_b32_e64 v58, v58, v59, s[0:1]
; %bb.159:                              ;   in Loop: Header=BB5_3 Depth=1
	s_or_b64 exec, exec, s[26:27]
	v_and_b32_e32 v55, 0xffff0000, v55
	v_add_f32_e32 v55, 0xc3080000, v55
	v_and_b32_e32 v59, 0x7f800000, v55
	v_cmp_ne_u32_e64 s[0:1], s6, v59
                                        ; implicit-def: $vgpr59
	s_and_saveexec_b64 s[26:27], s[0:1]
	s_xor_b64 s[0:1], exec, s[26:27]
; %bb.160:                              ;   in Loop: Header=BB5_3 Depth=1
	v_bfe_u32 v59, v55, 16, 1
	v_add3_u32 v59, v55, v59, s29
                                        ; implicit-def: $vgpr55
; %bb.161:                              ;   in Loop: Header=BB5_3 Depth=1
	s_andn2_saveexec_b64 s[26:27], s[0:1]
; %bb.162:                              ;   in Loop: Header=BB5_3 Depth=1
	v_or_b32_e32 v59, 0x10000, v55
	v_cmp_eq_u32_sdwa s[0:1], v55, v36 src0_sel:WORD_0 src1_sel:DWORD
	v_cndmask_b32_e64 v59, v59, v55, s[0:1]
; %bb.163:                              ;   in Loop: Header=BB5_3 Depth=1
	s_or_b64 exec, exec, s[26:27]
	v_lshlrev_b32_e32 v55, 16, v53
	v_add_f32_e32 v55, 0xc3080000, v55
	v_and_b32_e32 v60, 0x7f800000, v55
	v_cmp_ne_u32_e64 s[0:1], s6, v60
                                        ; implicit-def: $vgpr60
	s_and_saveexec_b64 s[26:27], s[0:1]
	s_xor_b64 s[0:1], exec, s[26:27]
; %bb.164:                              ;   in Loop: Header=BB5_3 Depth=1
	v_bfe_u32 v60, v55, 16, 1
	v_add3_u32 v60, v55, v60, s29
                                        ; implicit-def: $vgpr55
; %bb.165:                              ;   in Loop: Header=BB5_3 Depth=1
	s_andn2_saveexec_b64 s[26:27], s[0:1]
; %bb.166:                              ;   in Loop: Header=BB5_3 Depth=1
	v_or_b32_e32 v60, 0x10000, v55
	v_cmp_eq_u32_sdwa s[0:1], v55, v36 src0_sel:WORD_0 src1_sel:DWORD
	v_cndmask_b32_e64 v60, v60, v55, s[0:1]
; %bb.167:                              ;   in Loop: Header=BB5_3 Depth=1
	s_or_b64 exec, exec, s[26:27]
	v_and_b32_e32 v53, 0xffff0000, v53
	v_add_f32_e32 v53, 0xc3080000, v53
	v_and_b32_e32 v55, 0x7f800000, v53
	v_cmp_ne_u32_e64 s[0:1], s6, v55
                                        ; implicit-def: $vgpr61
	s_and_saveexec_b64 s[26:27], s[0:1]
	s_xor_b64 s[0:1], exec, s[26:27]
; %bb.168:                              ;   in Loop: Header=BB5_3 Depth=1
	v_bfe_u32 v55, v53, 16, 1
	v_add3_u32 v61, v53, v55, s29
                                        ; implicit-def: $vgpr53
; %bb.169:                              ;   in Loop: Header=BB5_3 Depth=1
	s_andn2_saveexec_b64 s[26:27], s[0:1]
; %bb.170:                              ;   in Loop: Header=BB5_3 Depth=1
	v_or_b32_e32 v55, 0x10000, v53
	v_cmp_eq_u32_sdwa s[0:1], v53, v36 src0_sel:WORD_0 src1_sel:DWORD
	v_cndmask_b32_e64 v61, v55, v53, s[0:1]
; %bb.171:                              ;   in Loop: Header=BB5_3 Depth=1
	s_or_b64 exec, exec, s[26:27]
	v_and_b32_e32 v6, 0xffff0000, v6
	s_waitcnt vmcnt(0)
	v_lshlrev_b32_e32 v55, 16, v45
	v_and_b32_e32 v53, 0xffff0000, v45
	v_fma_f32 v45, v6, v55, v53
	v_and_b32_e32 v6, 0x7f800000, v45
	v_cmp_ne_u32_e64 s[0:1], s6, v6
                                        ; implicit-def: $vgpr6
	s_and_saveexec_b64 s[26:27], s[0:1]
	s_xor_b64 s[0:1], exec, s[26:27]
; %bb.172:                              ;   in Loop: Header=BB5_3 Depth=1
	v_bfe_u32 v6, v45, 16, 1
	v_add3_u32 v6, v45, v6, s29
                                        ; implicit-def: $vgpr45
; %bb.173:                              ;   in Loop: Header=BB5_3 Depth=1
	s_andn2_saveexec_b64 s[26:27], s[0:1]
; %bb.174:                              ;   in Loop: Header=BB5_3 Depth=1
	v_or_b32_e32 v6, 0x10000, v45
	v_cmp_eq_u32_sdwa s[0:1], v45, v36 src0_sel:WORD_0 src1_sel:DWORD
	v_cndmask_b32_e64 v6, v6, v45, s[0:1]
; %bb.175:                              ;   in Loop: Header=BB5_3 Depth=1
	s_or_b64 exec, exec, s[26:27]
	v_and_b32_e32 v45, 0xffff0000, v54
	v_fma_f32 v54, v45, v55, v53
	v_and_b32_e32 v45, 0x7f800000, v54
	v_cmp_ne_u32_e64 s[0:1], s6, v45
                                        ; implicit-def: $vgpr45
	s_and_saveexec_b64 s[26:27], s[0:1]
	s_xor_b64 s[0:1], exec, s[26:27]
; %bb.176:                              ;   in Loop: Header=BB5_3 Depth=1
	v_bfe_u32 v45, v54, 16, 1
	v_add3_u32 v45, v54, v45, s29
                                        ; implicit-def: $vgpr54
; %bb.177:                              ;   in Loop: Header=BB5_3 Depth=1
	s_andn2_saveexec_b64 s[26:27], s[0:1]
; %bb.178:                              ;   in Loop: Header=BB5_3 Depth=1
	v_or_b32_e32 v45, 0x10000, v54
	v_cmp_eq_u32_sdwa s[0:1], v54, v36 src0_sel:WORD_0 src1_sel:DWORD
	v_cndmask_b32_e64 v45, v45, v54, s[0:1]
; %bb.179:                              ;   in Loop: Header=BB5_3 Depth=1
	s_or_b64 exec, exec, s[26:27]
	v_and_b32_e32 v54, 0xffff0000, v56
	v_fma_f32 v56, v54, v55, v53
	v_and_b32_e32 v54, 0x7f800000, v56
	v_cmp_ne_u32_e64 s[0:1], s6, v54
                                        ; implicit-def: $vgpr54
	s_and_saveexec_b64 s[26:27], s[0:1]
	s_xor_b64 s[0:1], exec, s[26:27]
; %bb.180:                              ;   in Loop: Header=BB5_3 Depth=1
	v_bfe_u32 v54, v56, 16, 1
	v_add3_u32 v54, v56, v54, s29
                                        ; implicit-def: $vgpr56
; %bb.181:                              ;   in Loop: Header=BB5_3 Depth=1
	s_andn2_saveexec_b64 s[26:27], s[0:1]
; %bb.182:                              ;   in Loop: Header=BB5_3 Depth=1
	v_or_b32_e32 v54, 0x10000, v56
	v_cmp_eq_u32_sdwa s[0:1], v56, v36 src0_sel:WORD_0 src1_sel:DWORD
	v_cndmask_b32_e64 v54, v54, v56, s[0:1]
; %bb.183:                              ;   in Loop: Header=BB5_3 Depth=1
	s_or_b64 exec, exec, s[26:27]
	v_and_b32_e32 v56, 0xffff0000, v57
	v_fma_f32 v57, v56, v55, v53
	v_and_b32_e32 v56, 0x7f800000, v57
	v_cmp_ne_u32_e64 s[0:1], s6, v56
                                        ; implicit-def: $vgpr56
	s_and_saveexec_b64 s[26:27], s[0:1]
	s_xor_b64 s[0:1], exec, s[26:27]
; %bb.184:                              ;   in Loop: Header=BB5_3 Depth=1
	v_bfe_u32 v56, v57, 16, 1
	v_add3_u32 v56, v57, v56, s29
                                        ; implicit-def: $vgpr57
; %bb.185:                              ;   in Loop: Header=BB5_3 Depth=1
	s_andn2_saveexec_b64 s[26:27], s[0:1]
; %bb.186:                              ;   in Loop: Header=BB5_3 Depth=1
	v_or_b32_e32 v56, 0x10000, v57
	v_cmp_eq_u32_sdwa s[0:1], v57, v36 src0_sel:WORD_0 src1_sel:DWORD
	v_cndmask_b32_e64 v56, v56, v57, s[0:1]
; %bb.187:                              ;   in Loop: Header=BB5_3 Depth=1
	s_or_b64 exec, exec, s[26:27]
	v_and_b32_e32 v57, 0xffff0000, v58
	v_fma_f32 v58, v57, v55, v53
	v_and_b32_e32 v57, 0x7f800000, v58
	v_cmp_ne_u32_e64 s[0:1], s6, v57
                                        ; implicit-def: $vgpr57
	s_and_saveexec_b64 s[26:27], s[0:1]
	s_xor_b64 s[0:1], exec, s[26:27]
; %bb.188:                              ;   in Loop: Header=BB5_3 Depth=1
	v_bfe_u32 v57, v58, 16, 1
	v_add3_u32 v57, v58, v57, s29
                                        ; implicit-def: $vgpr58
; %bb.189:                              ;   in Loop: Header=BB5_3 Depth=1
	s_andn2_saveexec_b64 s[26:27], s[0:1]
; %bb.190:                              ;   in Loop: Header=BB5_3 Depth=1
	v_or_b32_e32 v57, 0x10000, v58
	v_cmp_eq_u32_sdwa s[0:1], v58, v36 src0_sel:WORD_0 src1_sel:DWORD
	v_cndmask_b32_e64 v57, v57, v58, s[0:1]
; %bb.191:                              ;   in Loop: Header=BB5_3 Depth=1
	s_or_b64 exec, exec, s[26:27]
	v_and_b32_e32 v58, 0xffff0000, v59
	v_fma_f32 v59, v58, v55, v53
	v_and_b32_e32 v58, 0x7f800000, v59
	v_cmp_ne_u32_e64 s[0:1], s6, v58
                                        ; implicit-def: $vgpr58
	s_and_saveexec_b64 s[26:27], s[0:1]
	s_xor_b64 s[0:1], exec, s[26:27]
; %bb.192:                              ;   in Loop: Header=BB5_3 Depth=1
	v_bfe_u32 v58, v59, 16, 1
	v_add3_u32 v58, v59, v58, s29
                                        ; implicit-def: $vgpr59
; %bb.193:                              ;   in Loop: Header=BB5_3 Depth=1
	s_andn2_saveexec_b64 s[26:27], s[0:1]
; %bb.194:                              ;   in Loop: Header=BB5_3 Depth=1
	v_or_b32_e32 v58, 0x10000, v59
	v_cmp_eq_u32_sdwa s[0:1], v59, v36 src0_sel:WORD_0 src1_sel:DWORD
	v_cndmask_b32_e64 v58, v58, v59, s[0:1]
; %bb.195:                              ;   in Loop: Header=BB5_3 Depth=1
	s_or_b64 exec, exec, s[26:27]
	v_and_b32_e32 v59, 0xffff0000, v60
	v_fma_f32 v60, v59, v55, v53
	v_and_b32_e32 v59, 0x7f800000, v60
	v_cmp_ne_u32_e64 s[0:1], s6, v59
                                        ; implicit-def: $vgpr59
	s_and_saveexec_b64 s[26:27], s[0:1]
	s_xor_b64 s[0:1], exec, s[26:27]
; %bb.196:                              ;   in Loop: Header=BB5_3 Depth=1
	v_bfe_u32 v59, v60, 16, 1
	v_add3_u32 v59, v60, v59, s29
                                        ; implicit-def: $vgpr60
; %bb.197:                              ;   in Loop: Header=BB5_3 Depth=1
	s_andn2_saveexec_b64 s[26:27], s[0:1]
; %bb.198:                              ;   in Loop: Header=BB5_3 Depth=1
	v_or_b32_e32 v59, 0x10000, v60
	v_cmp_eq_u32_sdwa s[0:1], v60, v36 src0_sel:WORD_0 src1_sel:DWORD
	v_cndmask_b32_e64 v59, v59, v60, s[0:1]
; %bb.199:                              ;   in Loop: Header=BB5_3 Depth=1
	s_or_b64 exec, exec, s[26:27]
	v_and_b32_e32 v60, 0xffff0000, v61
	v_fma_f32 v61, v60, v55, v53
	v_and_b32_e32 v60, 0x7f800000, v61
	v_cmp_ne_u32_e64 s[0:1], s6, v60
                                        ; implicit-def: $vgpr60
	s_and_saveexec_b64 s[26:27], s[0:1]
	s_xor_b64 s[0:1], exec, s[26:27]
; %bb.200:                              ;   in Loop: Header=BB5_3 Depth=1
	v_bfe_u32 v60, v61, 16, 1
	v_add3_u32 v60, v61, v60, s29
                                        ; implicit-def: $vgpr61
; %bb.201:                              ;   in Loop: Header=BB5_3 Depth=1
	s_andn2_saveexec_b64 s[26:27], s[0:1]
; %bb.202:                              ;   in Loop: Header=BB5_3 Depth=1
	v_or_b32_e32 v60, 0x10000, v61
	v_cmp_eq_u32_sdwa s[0:1], v61, v36 src0_sel:WORD_0 src1_sel:DWORD
	v_cndmask_b32_e64 v60, v60, v61, s[0:1]
; %bb.203:                              ;   in Loop: Header=BB5_3 Depth=1
	s_or_b64 exec, exec, s[26:27]
	v_lshrrev_b32_e32 v62, 4, v7
	;;#ASMSTART
	v_and_or_b32 v61, v7, v37, v38
	;;#ASMEND
	;;#ASMSTART
	v_and_or_b32 v63, v62, v37, v38
	;;#ASMEND
	v_lshrrev_b32_e32 v62, 8, v7
	v_lshrrev_b32_e32 v7, 12, v7
	;;#ASMSTART
	v_and_or_b32 v65, v62, v37, v38
	;;#ASMEND
	;;#ASMSTART
	v_and_or_b32 v67, v7, v37, v38
	;;#ASMEND
	v_lshlrev_b32_e32 v7, 16, v61
	v_add_f32_e32 v62, 0xc3080000, v7
	v_and_b32_e32 v7, 0x7f800000, v62
	v_cmp_ne_u32_e64 s[0:1], s6, v7
                                        ; implicit-def: $vgpr7
	s_and_saveexec_b64 s[26:27], s[0:1]
	s_xor_b64 s[0:1], exec, s[26:27]
; %bb.204:                              ;   in Loop: Header=BB5_3 Depth=1
	v_bfe_u32 v7, v62, 16, 1
	v_add3_u32 v7, v62, v7, s29
                                        ; implicit-def: $vgpr62
; %bb.205:                              ;   in Loop: Header=BB5_3 Depth=1
	s_andn2_saveexec_b64 s[26:27], s[0:1]
; %bb.206:                              ;   in Loop: Header=BB5_3 Depth=1
	v_or_b32_e32 v7, 0x10000, v62
	v_cmp_eq_u32_sdwa s[0:1], v62, v36 src0_sel:WORD_0 src1_sel:DWORD
	v_cndmask_b32_e64 v7, v7, v62, s[0:1]
; %bb.207:                              ;   in Loop: Header=BB5_3 Depth=1
	s_or_b64 exec, exec, s[26:27]
	v_and_b32_e32 v61, 0xffff0000, v61
	v_add_f32_e32 v62, 0xc3080000, v61
	v_and_b32_e32 v61, 0x7f800000, v62
	v_cmp_ne_u32_e64 s[0:1], s6, v61
                                        ; implicit-def: $vgpr61
	s_and_saveexec_b64 s[26:27], s[0:1]
	s_xor_b64 s[0:1], exec, s[26:27]
; %bb.208:                              ;   in Loop: Header=BB5_3 Depth=1
	v_bfe_u32 v61, v62, 16, 1
	v_add3_u32 v61, v62, v61, s29
                                        ; implicit-def: $vgpr62
; %bb.209:                              ;   in Loop: Header=BB5_3 Depth=1
	s_andn2_saveexec_b64 s[26:27], s[0:1]
; %bb.210:                              ;   in Loop: Header=BB5_3 Depth=1
	v_or_b32_e32 v61, 0x10000, v62
	v_cmp_eq_u32_sdwa s[0:1], v62, v36 src0_sel:WORD_0 src1_sel:DWORD
	v_cndmask_b32_e64 v61, v61, v62, s[0:1]
; %bb.211:                              ;   in Loop: Header=BB5_3 Depth=1
	s_or_b64 exec, exec, s[26:27]
	v_lshlrev_b32_e32 v62, 16, v63
	v_add_f32_e32 v64, 0xc3080000, v62
	v_and_b32_e32 v62, 0x7f800000, v64
	v_cmp_ne_u32_e64 s[0:1], s6, v62
                                        ; implicit-def: $vgpr62
	s_and_saveexec_b64 s[26:27], s[0:1]
	s_xor_b64 s[0:1], exec, s[26:27]
; %bb.212:                              ;   in Loop: Header=BB5_3 Depth=1
	v_bfe_u32 v62, v64, 16, 1
	v_add3_u32 v62, v64, v62, s29
                                        ; implicit-def: $vgpr64
; %bb.213:                              ;   in Loop: Header=BB5_3 Depth=1
	s_andn2_saveexec_b64 s[26:27], s[0:1]
; %bb.214:                              ;   in Loop: Header=BB5_3 Depth=1
	v_or_b32_e32 v62, 0x10000, v64
	v_cmp_eq_u32_sdwa s[0:1], v64, v36 src0_sel:WORD_0 src1_sel:DWORD
	v_cndmask_b32_e64 v62, v62, v64, s[0:1]
; %bb.215:                              ;   in Loop: Header=BB5_3 Depth=1
	s_or_b64 exec, exec, s[26:27]
	v_and_b32_e32 v63, 0xffff0000, v63
	v_add_f32_e32 v64, 0xc3080000, v63
	v_and_b32_e32 v63, 0x7f800000, v64
	v_cmp_ne_u32_e64 s[0:1], s6, v63
                                        ; implicit-def: $vgpr63
	s_and_saveexec_b64 s[26:27], s[0:1]
	s_xor_b64 s[0:1], exec, s[26:27]
; %bb.216:                              ;   in Loop: Header=BB5_3 Depth=1
	v_bfe_u32 v63, v64, 16, 1
	v_add3_u32 v63, v64, v63, s29
                                        ; implicit-def: $vgpr64
; %bb.217:                              ;   in Loop: Header=BB5_3 Depth=1
	s_andn2_saveexec_b64 s[26:27], s[0:1]
; %bb.218:                              ;   in Loop: Header=BB5_3 Depth=1
	v_or_b32_e32 v63, 0x10000, v64
	v_cmp_eq_u32_sdwa s[0:1], v64, v36 src0_sel:WORD_0 src1_sel:DWORD
	v_cndmask_b32_e64 v63, v63, v64, s[0:1]
; %bb.219:                              ;   in Loop: Header=BB5_3 Depth=1
	s_or_b64 exec, exec, s[26:27]
	v_lshlrev_b32_e32 v64, 16, v65
	v_add_f32_e32 v66, 0xc3080000, v64
	v_and_b32_e32 v64, 0x7f800000, v66
	v_cmp_ne_u32_e64 s[0:1], s6, v64
                                        ; implicit-def: $vgpr64
	s_and_saveexec_b64 s[26:27], s[0:1]
	s_xor_b64 s[0:1], exec, s[26:27]
; %bb.220:                              ;   in Loop: Header=BB5_3 Depth=1
	v_bfe_u32 v64, v66, 16, 1
	v_add3_u32 v64, v66, v64, s29
                                        ; implicit-def: $vgpr66
; %bb.221:                              ;   in Loop: Header=BB5_3 Depth=1
	s_andn2_saveexec_b64 s[26:27], s[0:1]
; %bb.222:                              ;   in Loop: Header=BB5_3 Depth=1
	v_or_b32_e32 v64, 0x10000, v66
	v_cmp_eq_u32_sdwa s[0:1], v66, v36 src0_sel:WORD_0 src1_sel:DWORD
	v_cndmask_b32_e64 v64, v64, v66, s[0:1]
; %bb.223:                              ;   in Loop: Header=BB5_3 Depth=1
	s_or_b64 exec, exec, s[26:27]
	v_and_b32_e32 v65, 0xffff0000, v65
	v_add_f32_e32 v66, 0xc3080000, v65
	v_and_b32_e32 v65, 0x7f800000, v66
	v_cmp_ne_u32_e64 s[0:1], s6, v65
                                        ; implicit-def: $vgpr65
	s_and_saveexec_b64 s[26:27], s[0:1]
	s_xor_b64 s[0:1], exec, s[26:27]
; %bb.224:                              ;   in Loop: Header=BB5_3 Depth=1
	v_bfe_u32 v65, v66, 16, 1
	v_add3_u32 v65, v66, v65, s29
                                        ; implicit-def: $vgpr66
; %bb.225:                              ;   in Loop: Header=BB5_3 Depth=1
	s_andn2_saveexec_b64 s[26:27], s[0:1]
; %bb.226:                              ;   in Loop: Header=BB5_3 Depth=1
	v_or_b32_e32 v65, 0x10000, v66
	v_cmp_eq_u32_sdwa s[0:1], v66, v36 src0_sel:WORD_0 src1_sel:DWORD
	v_cndmask_b32_e64 v65, v65, v66, s[0:1]
; %bb.227:                              ;   in Loop: Header=BB5_3 Depth=1
	s_or_b64 exec, exec, s[26:27]
	v_lshlrev_b32_e32 v66, 16, v67
	v_add_f32_e32 v68, 0xc3080000, v66
	v_and_b32_e32 v66, 0x7f800000, v68
	v_cmp_ne_u32_e64 s[0:1], s6, v66
                                        ; implicit-def: $vgpr66
	s_and_saveexec_b64 s[26:27], s[0:1]
	s_xor_b64 s[0:1], exec, s[26:27]
; %bb.228:                              ;   in Loop: Header=BB5_3 Depth=1
	v_bfe_u32 v66, v68, 16, 1
	v_add3_u32 v66, v68, v66, s29
                                        ; implicit-def: $vgpr68
; %bb.229:                              ;   in Loop: Header=BB5_3 Depth=1
	s_andn2_saveexec_b64 s[26:27], s[0:1]
; %bb.230:                              ;   in Loop: Header=BB5_3 Depth=1
	v_or_b32_e32 v66, 0x10000, v68
	v_cmp_eq_u32_sdwa s[0:1], v68, v36 src0_sel:WORD_0 src1_sel:DWORD
	v_cndmask_b32_e64 v66, v66, v68, s[0:1]
; %bb.231:                              ;   in Loop: Header=BB5_3 Depth=1
	s_or_b64 exec, exec, s[26:27]
	v_and_b32_e32 v67, 0xffff0000, v67
	v_add_f32_e32 v68, 0xc3080000, v67
	v_and_b32_e32 v67, 0x7f800000, v68
	v_cmp_ne_u32_e64 s[0:1], s6, v67
                                        ; implicit-def: $vgpr67
	s_and_saveexec_b64 s[26:27], s[0:1]
	s_xor_b64 s[0:1], exec, s[26:27]
; %bb.232:                              ;   in Loop: Header=BB5_3 Depth=1
	v_bfe_u32 v67, v68, 16, 1
	v_add3_u32 v67, v68, v67, s29
                                        ; implicit-def: $vgpr68
; %bb.233:                              ;   in Loop: Header=BB5_3 Depth=1
	s_andn2_saveexec_b64 s[26:27], s[0:1]
; %bb.234:                              ;   in Loop: Header=BB5_3 Depth=1
	v_or_b32_e32 v67, 0x10000, v68
	v_cmp_eq_u32_sdwa s[0:1], v68, v36 src0_sel:WORD_0 src1_sel:DWORD
	v_cndmask_b32_e64 v67, v67, v68, s[0:1]
; %bb.235:                              ;   in Loop: Header=BB5_3 Depth=1
	s_or_b64 exec, exec, s[26:27]
	v_and_b32_e32 v7, 0xffff0000, v7
	v_fma_f32 v68, v7, v55, v53
	v_and_b32_e32 v7, 0x7f800000, v68
	v_cmp_ne_u32_e64 s[0:1], s6, v7
                                        ; implicit-def: $vgpr7
	s_and_saveexec_b64 s[26:27], s[0:1]
	s_xor_b64 s[0:1], exec, s[26:27]
; %bb.236:                              ;   in Loop: Header=BB5_3 Depth=1
	v_bfe_u32 v7, v68, 16, 1
	v_add3_u32 v7, v68, v7, s29
                                        ; implicit-def: $vgpr68
; %bb.237:                              ;   in Loop: Header=BB5_3 Depth=1
	s_andn2_saveexec_b64 s[26:27], s[0:1]
; %bb.238:                              ;   in Loop: Header=BB5_3 Depth=1
	v_or_b32_e32 v7, 0x10000, v68
	v_cmp_eq_u32_sdwa s[0:1], v68, v36 src0_sel:WORD_0 src1_sel:DWORD
	v_cndmask_b32_e64 v7, v7, v68, s[0:1]
; %bb.239:                              ;   in Loop: Header=BB5_3 Depth=1
	s_or_b64 exec, exec, s[26:27]
	v_and_b32_e32 v61, 0xffff0000, v61
	v_fma_f32 v68, v61, v55, v53
	v_and_b32_e32 v61, 0x7f800000, v68
	v_cmp_ne_u32_e64 s[0:1], s6, v61
                                        ; implicit-def: $vgpr61
	s_and_saveexec_b64 s[26:27], s[0:1]
	s_xor_b64 s[0:1], exec, s[26:27]
; %bb.240:                              ;   in Loop: Header=BB5_3 Depth=1
	v_bfe_u32 v61, v68, 16, 1
	v_add3_u32 v61, v68, v61, s29
                                        ; implicit-def: $vgpr68
; %bb.241:                              ;   in Loop: Header=BB5_3 Depth=1
	s_andn2_saveexec_b64 s[26:27], s[0:1]
; %bb.242:                              ;   in Loop: Header=BB5_3 Depth=1
	v_or_b32_e32 v61, 0x10000, v68
	v_cmp_eq_u32_sdwa s[0:1], v68, v36 src0_sel:WORD_0 src1_sel:DWORD
	v_cndmask_b32_e64 v61, v61, v68, s[0:1]
; %bb.243:                              ;   in Loop: Header=BB5_3 Depth=1
	s_or_b64 exec, exec, s[26:27]
	v_and_b32_e32 v62, 0xffff0000, v62
	v_fma_f32 v68, v62, v55, v53
	v_and_b32_e32 v62, 0x7f800000, v68
	v_cmp_ne_u32_e64 s[0:1], s6, v62
                                        ; implicit-def: $vgpr62
	s_and_saveexec_b64 s[26:27], s[0:1]
	s_xor_b64 s[0:1], exec, s[26:27]
; %bb.244:                              ;   in Loop: Header=BB5_3 Depth=1
	v_bfe_u32 v62, v68, 16, 1
	v_add3_u32 v62, v68, v62, s29
                                        ; implicit-def: $vgpr68
; %bb.245:                              ;   in Loop: Header=BB5_3 Depth=1
	s_andn2_saveexec_b64 s[26:27], s[0:1]
; %bb.246:                              ;   in Loop: Header=BB5_3 Depth=1
	v_or_b32_e32 v62, 0x10000, v68
	v_cmp_eq_u32_sdwa s[0:1], v68, v36 src0_sel:WORD_0 src1_sel:DWORD
	v_cndmask_b32_e64 v62, v62, v68, s[0:1]
; %bb.247:                              ;   in Loop: Header=BB5_3 Depth=1
	s_or_b64 exec, exec, s[26:27]
	v_and_b32_e32 v63, 0xffff0000, v63
	v_fma_f32 v68, v63, v55, v53
	v_and_b32_e32 v63, 0x7f800000, v68
	v_cmp_ne_u32_e64 s[0:1], s6, v63
                                        ; implicit-def: $vgpr63
	s_and_saveexec_b64 s[26:27], s[0:1]
	s_xor_b64 s[0:1], exec, s[26:27]
; %bb.248:                              ;   in Loop: Header=BB5_3 Depth=1
	v_bfe_u32 v63, v68, 16, 1
	v_add3_u32 v63, v68, v63, s29
                                        ; implicit-def: $vgpr68
; %bb.249:                              ;   in Loop: Header=BB5_3 Depth=1
	s_andn2_saveexec_b64 s[26:27], s[0:1]
; %bb.250:                              ;   in Loop: Header=BB5_3 Depth=1
	v_or_b32_e32 v63, 0x10000, v68
	v_cmp_eq_u32_sdwa s[0:1], v68, v36 src0_sel:WORD_0 src1_sel:DWORD
	v_cndmask_b32_e64 v63, v63, v68, s[0:1]
; %bb.251:                              ;   in Loop: Header=BB5_3 Depth=1
	s_or_b64 exec, exec, s[26:27]
	v_and_b32_e32 v64, 0xffff0000, v64
	v_fma_f32 v68, v64, v55, v53
	v_and_b32_e32 v64, 0x7f800000, v68
	v_cmp_ne_u32_e64 s[0:1], s6, v64
                                        ; implicit-def: $vgpr64
	s_and_saveexec_b64 s[26:27], s[0:1]
	s_xor_b64 s[0:1], exec, s[26:27]
; %bb.252:                              ;   in Loop: Header=BB5_3 Depth=1
	v_bfe_u32 v64, v68, 16, 1
	v_add3_u32 v64, v68, v64, s29
                                        ; implicit-def: $vgpr68
; %bb.253:                              ;   in Loop: Header=BB5_3 Depth=1
	s_andn2_saveexec_b64 s[26:27], s[0:1]
; %bb.254:                              ;   in Loop: Header=BB5_3 Depth=1
	v_or_b32_e32 v64, 0x10000, v68
	v_cmp_eq_u32_sdwa s[0:1], v68, v36 src0_sel:WORD_0 src1_sel:DWORD
	v_cndmask_b32_e64 v64, v64, v68, s[0:1]
; %bb.255:                              ;   in Loop: Header=BB5_3 Depth=1
	s_or_b64 exec, exec, s[26:27]
	v_and_b32_e32 v65, 0xffff0000, v65
	v_fma_f32 v68, v65, v55, v53
	v_and_b32_e32 v65, 0x7f800000, v68
	v_cmp_ne_u32_e64 s[0:1], s6, v65
                                        ; implicit-def: $vgpr65
	s_and_saveexec_b64 s[26:27], s[0:1]
	s_xor_b64 s[0:1], exec, s[26:27]
; %bb.256:                              ;   in Loop: Header=BB5_3 Depth=1
	v_bfe_u32 v65, v68, 16, 1
	v_add3_u32 v65, v68, v65, s29
                                        ; implicit-def: $vgpr68
; %bb.257:                              ;   in Loop: Header=BB5_3 Depth=1
	s_andn2_saveexec_b64 s[26:27], s[0:1]
; %bb.258:                              ;   in Loop: Header=BB5_3 Depth=1
	v_or_b32_e32 v65, 0x10000, v68
	v_cmp_eq_u32_sdwa s[0:1], v68, v36 src0_sel:WORD_0 src1_sel:DWORD
	v_cndmask_b32_e64 v65, v65, v68, s[0:1]
; %bb.259:                              ;   in Loop: Header=BB5_3 Depth=1
	s_or_b64 exec, exec, s[26:27]
	v_and_b32_e32 v66, 0xffff0000, v66
	v_fma_f32 v68, v66, v55, v53
	v_and_b32_e32 v66, 0x7f800000, v68
	v_cmp_ne_u32_e64 s[0:1], s6, v66
                                        ; implicit-def: $vgpr66
	s_and_saveexec_b64 s[26:27], s[0:1]
	s_xor_b64 s[0:1], exec, s[26:27]
; %bb.260:                              ;   in Loop: Header=BB5_3 Depth=1
	v_bfe_u32 v66, v68, 16, 1
	v_add3_u32 v66, v68, v66, s29
                                        ; implicit-def: $vgpr68
; %bb.261:                              ;   in Loop: Header=BB5_3 Depth=1
	s_andn2_saveexec_b64 s[26:27], s[0:1]
; %bb.262:                              ;   in Loop: Header=BB5_3 Depth=1
	v_or_b32_e32 v66, 0x10000, v68
	v_cmp_eq_u32_sdwa s[0:1], v68, v36 src0_sel:WORD_0 src1_sel:DWORD
	v_cndmask_b32_e64 v66, v66, v68, s[0:1]
; %bb.263:                              ;   in Loop: Header=BB5_3 Depth=1
	s_or_b64 exec, exec, s[26:27]
	v_and_b32_e32 v67, 0xffff0000, v67
	v_fmac_f32_e32 v53, v67, v55
	v_and_b32_e32 v55, 0x7f800000, v53
	v_cmp_ne_u32_e64 s[0:1], s6, v55
                                        ; implicit-def: $vgpr55
	s_and_saveexec_b64 s[26:27], s[0:1]
	s_xor_b64 s[0:1], exec, s[26:27]
; %bb.264:                              ;   in Loop: Header=BB5_3 Depth=1
	v_bfe_u32 v55, v53, 16, 1
	v_add3_u32 v55, v53, v55, s29
                                        ; implicit-def: $vgpr53
; %bb.265:                              ;   in Loop: Header=BB5_3 Depth=1
	s_andn2_saveexec_b64 s[26:27], s[0:1]
	s_cbranch_execz .LBB5_2
; %bb.266:                              ;   in Loop: Header=BB5_3 Depth=1
	v_or_b32_e32 v55, 0x10000, v53
	v_cmp_eq_u32_sdwa s[0:1], v53, v36 src0_sel:WORD_0 src1_sel:DWORD
	v_cndmask_b32_e64 v55, v55, v53, s[0:1]
	s_branch .LBB5_2
.LBB5_267:
	s_or_b64 exec, exec, s[10:11]
.LBB5_268:
	s_or_b64 exec, exec, s[4:5]
	v_add_u32_e32 v24, s19, v31
	v_cmp_gt_u32_e32 vcc, s3, v24
	s_and_saveexec_b64 s[0:1], vcc
	s_cbranch_execz .LBB5_534
; %bb.269:
	v_lshl_or_b32 v8, s8, 4, v29
	v_mul_lo_u32 v6, v8, s18
	v_ashrrev_i32_e32 v7, 31, v6
	v_and_b32_e32 v4, 0xfc, v27
	v_lshlrev_b64 v[6:7], 1, v[6:7]
	v_lshl_add_u32 v4, v24, 4, v4
	v_mov_b32_e32 v5, s21
	v_add_co_u32_e32 v6, vcc, s20, v6
	v_addc_co_u32_e32 v7, vcc, v5, v7, vcc
	v_ashrrev_i32_e32 v5, 31, v4
	v_lshlrev_b64 v[4:5], 1, v[4:5]
	v_add_co_u32_e32 v4, vcc, v6, v4
	v_addc_co_u32_e32 v5, vcc, v7, v5, vcc
	v_cmp_gt_i32_e32 vcc, s16, v8
	v_mov_b32_e32 v8, 0
	v_mov_b32_e32 v14, 0
	;; [unrolled: 1-line block ×5, first 2 shown]
	s_and_saveexec_b64 s[4:5], vcc
	s_cbranch_execz .LBB5_271
; %bb.270:
	global_load_dwordx2 v[14:15], v[4:5], off
	global_load_dwordx2 v[12:13], v[4:5], off offset:32
.LBB5_271:
	s_or_b64 exec, exec, s[4:5]
	v_mov_b32_e32 v9, 0
	v_mov_b32_e32 v18, 0
	;; [unrolled: 1-line block ×3, first 2 shown]
	s_and_saveexec_b64 s[4:5], vcc
	s_cbranch_execz .LBB5_273
; %bb.272:
	global_load_dwordx2 v[8:9], v[4:5], off offset:64
	global_load_dwordx2 v[18:19], v[4:5], off offset:96
.LBB5_273:
	s_or_b64 exec, exec, s[4:5]
	v_mov_b32_e32 v10, 0
	v_mov_b32_e32 v22, 0
	v_mov_b32_e32 v23, 0
	v_mov_b32_e32 v20, 0
	v_mov_b32_e32 v21, 0
	s_and_saveexec_b64 s[4:5], vcc
	s_cbranch_execz .LBB5_275
; %bb.274:
	global_load_dwordx2 v[22:23], v[4:5], off offset:128
	global_load_dwordx2 v[20:21], v[4:5], off offset:160
.LBB5_275:
	s_or_b64 exec, exec, s[4:5]
	v_mov_b32_e32 v11, 0
	v_mov_b32_e32 v16, 0
	;; [unrolled: 1-line block ×3, first 2 shown]
	s_and_saveexec_b64 s[4:5], vcc
	s_cbranch_execz .LBB5_277
; %bb.276:
	global_load_dwordx2 v[10:11], v[4:5], off offset:192
	global_load_dwordx2 v[16:17], v[4:5], off offset:224
.LBB5_277:
	s_or_b64 exec, exec, s[4:5]
	v_lshrrev_b32_e32 v4, 3, v24
	v_add_u32_e32 v4, s9, v4
	v_lshl_add_u32 v4, v4, 8, v30
	v_ashrrev_i32_e32 v5, 31, v4
	v_lshrrev_b32_e32 v24, 2, v24
	v_lshlrev_b64 v[4:5], 2, v[4:5]
	v_mul_lo_u32 v24, s2, v24
	v_mov_b32_e32 v6, s23
	v_add_co_u32_e32 v4, vcc, s22, v4
	v_lshl_or_b32 v25, s7, 4, v29
	v_lshlrev_b32_e32 v24, 4, v24
	v_addc_co_u32_e32 v5, vcc, v6, v5, vcc
	v_add_lshl_u32 v24, v25, v24, 1
	global_load_dwordx4 v[4:7], v[4:5], off
	v_ashrrev_i32_e32 v25, 31, v24
	v_lshlrev_b64 v[24:25], 1, v[24:25]
	s_lshl_b32 s2, s2, 5
	v_mov_b32_e32 v29, s13
	v_add_co_u32_e32 v30, vcc, s12, v24
	s_ashr_i32 s3, s2, 31
	v_addc_co_u32_e32 v31, vcc, v29, v25, vcc
	s_lshl_b64 s[2:3], s[2:3], 1
	v_mov_b32_e32 v24, s3
	v_add_co_u32_e32 v32, vcc, s2, v30
	v_addc_co_u32_e32 v33, vcc, v31, v24, vcc
	global_load_dword v24, v[30:31], off
	global_load_dword v34, v[32:33], off
	v_mov_b32_e32 v29, 0xf000f
	v_mov_b32_e32 v31, 0x43004300
	s_waitcnt vmcnt(2)
	;;#ASMSTART
	v_and_or_b32 v25, v4, v29, v31
	;;#ASMEND
	s_mov_b32 s2, 0x7f800000
	v_lshrrev_b32_e32 v30, 4, v4
	v_lshrrev_b32_e32 v32, 8, v4
	;; [unrolled: 1-line block ×3, first 2 shown]
	;;#ASMSTART
	v_and_or_b32 v30, v30, v29, v31
	;;#ASMEND
	;;#ASMSTART
	v_and_or_b32 v32, v32, v29, v31
	;;#ASMEND
	;; [unrolled: 3-line block ×3, first 2 shown]
	v_lshlrev_b32_e32 v4, 16, v25
	v_add_f32_e32 v29, 0xc3080000, v4
	v_and_b32_e32 v4, 0x7f800000, v29
	v_cmp_ne_u32_e32 vcc, s2, v4
                                        ; implicit-def: $vgpr4
	s_and_saveexec_b64 s[2:3], vcc
	s_xor_b64 s[2:3], exec, s[2:3]
; %bb.278:
	v_bfe_u32 v4, v29, 16, 1
	s_movk_i32 s4, 0x7fff
	v_add3_u32 v4, v29, v4, s4
                                        ; implicit-def: $vgpr29
; %bb.279:
	s_andn2_saveexec_b64 s[2:3], s[2:3]
; %bb.280:
	v_mov_b32_e32 v4, 0
	v_or_b32_e32 v31, 0x10000, v29
	v_cmp_eq_u32_sdwa vcc, v29, v4 src0_sel:WORD_0 src1_sel:DWORD
	v_cndmask_b32_e32 v4, v31, v29, vcc
; %bb.281:
	s_or_b64 exec, exec, s[2:3]
	v_and_b32_e32 v25, 0xffff0000, v25
	v_add_f32_e32 v29, 0xc3080000, v25
	s_mov_b32 s2, 0x7f800000
	v_and_b32_e32 v25, 0x7f800000, v29
	v_cmp_ne_u32_e32 vcc, s2, v25
                                        ; implicit-def: $vgpr25
	s_and_saveexec_b64 s[2:3], vcc
	s_xor_b64 s[2:3], exec, s[2:3]
; %bb.282:
	v_bfe_u32 v25, v29, 16, 1
	s_movk_i32 s4, 0x7fff
	v_add3_u32 v25, v29, v25, s4
                                        ; implicit-def: $vgpr29
; %bb.283:
	s_andn2_saveexec_b64 s[2:3], s[2:3]
; %bb.284:
	v_mov_b32_e32 v25, 0
	v_or_b32_e32 v31, 0x10000, v29
	v_cmp_eq_u32_sdwa vcc, v29, v25 src0_sel:WORD_0 src1_sel:DWORD
	v_cndmask_b32_e32 v25, v31, v29, vcc
; %bb.285:
	s_or_b64 exec, exec, s[2:3]
	v_lshlrev_b32_e32 v29, 16, v30
	v_add_f32_e32 v31, 0xc3080000, v29
	s_mov_b32 s2, 0x7f800000
	v_and_b32_e32 v29, 0x7f800000, v31
	v_cmp_ne_u32_e32 vcc, s2, v29
                                        ; implicit-def: $vgpr29
	s_and_saveexec_b64 s[2:3], vcc
	s_xor_b64 s[2:3], exec, s[2:3]
; %bb.286:
	v_bfe_u32 v29, v31, 16, 1
	s_movk_i32 s4, 0x7fff
	v_add3_u32 v29, v31, v29, s4
                                        ; implicit-def: $vgpr31
; %bb.287:
	s_andn2_saveexec_b64 s[2:3], s[2:3]
; %bb.288:
	v_mov_b32_e32 v29, 0
	v_or_b32_e32 v33, 0x10000, v31
	v_cmp_eq_u32_sdwa vcc, v31, v29 src0_sel:WORD_0 src1_sel:DWORD
	v_cndmask_b32_e32 v29, v33, v31, vcc
; %bb.289:
	s_or_b64 exec, exec, s[2:3]
	v_and_b32_e32 v30, 0xffff0000, v30
	v_add_f32_e32 v31, 0xc3080000, v30
	s_mov_b32 s2, 0x7f800000
	v_and_b32_e32 v30, 0x7f800000, v31
	v_cmp_ne_u32_e32 vcc, s2, v30
                                        ; implicit-def: $vgpr30
	s_and_saveexec_b64 s[2:3], vcc
	s_xor_b64 s[2:3], exec, s[2:3]
; %bb.290:
	v_bfe_u32 v30, v31, 16, 1
	s_movk_i32 s4, 0x7fff
	v_add3_u32 v30, v31, v30, s4
                                        ; implicit-def: $vgpr31
; %bb.291:
	s_andn2_saveexec_b64 s[2:3], s[2:3]
; %bb.292:
	v_mov_b32_e32 v30, 0
	v_or_b32_e32 v33, 0x10000, v31
	v_cmp_eq_u32_sdwa vcc, v31, v30 src0_sel:WORD_0 src1_sel:DWORD
	v_cndmask_b32_e32 v30, v33, v31, vcc
; %bb.293:
	s_or_b64 exec, exec, s[2:3]
	v_lshlrev_b32_e32 v31, 16, v32
	v_add_f32_e32 v33, 0xc3080000, v31
	s_mov_b32 s2, 0x7f800000
	v_and_b32_e32 v31, 0x7f800000, v33
	v_cmp_ne_u32_e32 vcc, s2, v31
                                        ; implicit-def: $vgpr31
	s_and_saveexec_b64 s[2:3], vcc
	s_xor_b64 s[2:3], exec, s[2:3]
; %bb.294:
	v_bfe_u32 v31, v33, 16, 1
	s_movk_i32 s4, 0x7fff
	v_add3_u32 v31, v33, v31, s4
                                        ; implicit-def: $vgpr33
; %bb.295:
	s_andn2_saveexec_b64 s[2:3], s[2:3]
; %bb.296:
	v_mov_b32_e32 v31, 0
	v_or_b32_e32 v36, 0x10000, v33
	v_cmp_eq_u32_sdwa vcc, v33, v31 src0_sel:WORD_0 src1_sel:DWORD
	v_cndmask_b32_e32 v31, v36, v33, vcc
; %bb.297:
	s_or_b64 exec, exec, s[2:3]
	v_and_b32_e32 v32, 0xffff0000, v32
	v_add_f32_e32 v33, 0xc3080000, v32
	s_mov_b32 s2, 0x7f800000
	v_and_b32_e32 v32, 0x7f800000, v33
	v_cmp_ne_u32_e32 vcc, s2, v32
                                        ; implicit-def: $vgpr32
	s_and_saveexec_b64 s[2:3], vcc
	s_xor_b64 s[2:3], exec, s[2:3]
; %bb.298:
	v_bfe_u32 v32, v33, 16, 1
	s_movk_i32 s4, 0x7fff
	v_add3_u32 v32, v33, v32, s4
                                        ; implicit-def: $vgpr33
; %bb.299:
	s_andn2_saveexec_b64 s[2:3], s[2:3]
; %bb.300:
	v_mov_b32_e32 v32, 0
	v_or_b32_e32 v36, 0x10000, v33
	v_cmp_eq_u32_sdwa vcc, v33, v32 src0_sel:WORD_0 src1_sel:DWORD
	v_cndmask_b32_e32 v32, v36, v33, vcc
; %bb.301:
	s_or_b64 exec, exec, s[2:3]
	v_lshlrev_b32_e32 v33, 16, v35
	v_add_f32_e32 v36, 0xc3080000, v33
	s_mov_b32 s2, 0x7f800000
	v_and_b32_e32 v33, 0x7f800000, v36
	v_cmp_ne_u32_e32 vcc, s2, v33
                                        ; implicit-def: $vgpr33
	s_and_saveexec_b64 s[2:3], vcc
	s_xor_b64 s[2:3], exec, s[2:3]
; %bb.302:
	v_bfe_u32 v33, v36, 16, 1
	s_movk_i32 s4, 0x7fff
	v_add3_u32 v33, v36, v33, s4
                                        ; implicit-def: $vgpr36
; %bb.303:
	s_andn2_saveexec_b64 s[2:3], s[2:3]
; %bb.304:
	v_mov_b32_e32 v33, 0
	v_or_b32_e32 v37, 0x10000, v36
	v_cmp_eq_u32_sdwa vcc, v36, v33 src0_sel:WORD_0 src1_sel:DWORD
	v_cndmask_b32_e32 v33, v37, v36, vcc
; %bb.305:
	s_or_b64 exec, exec, s[2:3]
	v_and_b32_e32 v35, 0xffff0000, v35
	v_add_f32_e32 v36, 0xc3080000, v35
	s_mov_b32 s2, 0x7f800000
	v_and_b32_e32 v35, 0x7f800000, v36
	v_cmp_ne_u32_e32 vcc, s2, v35
                                        ; implicit-def: $vgpr35
	s_and_saveexec_b64 s[2:3], vcc
	s_xor_b64 s[2:3], exec, s[2:3]
; %bb.306:
	v_bfe_u32 v35, v36, 16, 1
	s_movk_i32 s4, 0x7fff
	v_add3_u32 v35, v36, v35, s4
                                        ; implicit-def: $vgpr36
; %bb.307:
	s_andn2_saveexec_b64 s[2:3], s[2:3]
; %bb.308:
	v_mov_b32_e32 v35, 0
	v_or_b32_e32 v37, 0x10000, v36
	v_cmp_eq_u32_sdwa vcc, v36, v35 src0_sel:WORD_0 src1_sel:DWORD
	v_cndmask_b32_e32 v35, v37, v36, vcc
; %bb.309:
	s_or_b64 exec, exec, s[2:3]
	v_and_b32_e32 v4, 0xffff0000, v4
	s_waitcnt vmcnt(1)
	v_lshlrev_b32_e32 v41, 16, v24
	v_and_b32_e32 v42, 0xffff0000, v24
	v_fma_f32 v24, v4, v41, v42
	s_mov_b32 s2, 0x7f800000
	v_and_b32_e32 v4, 0x7f800000, v24
	v_cmp_ne_u32_e32 vcc, s2, v4
                                        ; implicit-def: $vgpr4
	s_and_saveexec_b64 s[2:3], vcc
	s_xor_b64 s[2:3], exec, s[2:3]
; %bb.310:
	v_bfe_u32 v4, v24, 16, 1
	s_movk_i32 s4, 0x7fff
	v_add3_u32 v4, v24, v4, s4
                                        ; implicit-def: $vgpr24
; %bb.311:
	s_andn2_saveexec_b64 s[2:3], s[2:3]
; %bb.312:
	v_mov_b32_e32 v4, 0
	v_or_b32_e32 v36, 0x10000, v24
	v_cmp_eq_u32_sdwa vcc, v24, v4 src0_sel:WORD_0 src1_sel:DWORD
	v_cndmask_b32_e32 v4, v36, v24, vcc
; %bb.313:
	s_or_b64 exec, exec, s[2:3]
	v_and_b32_e32 v24, 0xffff0000, v25
	v_fma_f32 v25, v24, v41, v42
	s_mov_b32 s2, 0x7f800000
	v_and_b32_e32 v24, 0x7f800000, v25
	v_cmp_ne_u32_e32 vcc, s2, v24
                                        ; implicit-def: $vgpr24
	s_and_saveexec_b64 s[2:3], vcc
	s_xor_b64 s[2:3], exec, s[2:3]
; %bb.314:
	v_bfe_u32 v24, v25, 16, 1
	s_movk_i32 s4, 0x7fff
	v_add3_u32 v24, v25, v24, s4
                                        ; implicit-def: $vgpr25
; %bb.315:
	s_andn2_saveexec_b64 s[2:3], s[2:3]
; %bb.316:
	v_mov_b32_e32 v24, 0
	v_or_b32_e32 v36, 0x10000, v25
	v_cmp_eq_u32_sdwa vcc, v25, v24 src0_sel:WORD_0 src1_sel:DWORD
	v_cndmask_b32_e32 v24, v36, v25, vcc
; %bb.317:
	s_or_b64 exec, exec, s[2:3]
	v_and_b32_e32 v25, 0xffff0000, v29
	v_fma_f32 v29, v25, v41, v42
	s_mov_b32 s2, 0x7f800000
	v_and_b32_e32 v25, 0x7f800000, v29
	v_cmp_ne_u32_e32 vcc, s2, v25
                                        ; implicit-def: $vgpr25
	s_and_saveexec_b64 s[2:3], vcc
	s_xor_b64 s[2:3], exec, s[2:3]
; %bb.318:
	v_bfe_u32 v25, v29, 16, 1
	s_movk_i32 s4, 0x7fff
	v_add3_u32 v25, v29, v25, s4
                                        ; implicit-def: $vgpr29
; %bb.319:
	s_andn2_saveexec_b64 s[2:3], s[2:3]
; %bb.320:
	v_mov_b32_e32 v25, 0
	v_or_b32_e32 v36, 0x10000, v29
	v_cmp_eq_u32_sdwa vcc, v29, v25 src0_sel:WORD_0 src1_sel:DWORD
	v_cndmask_b32_e32 v25, v36, v29, vcc
; %bb.321:
	s_or_b64 exec, exec, s[2:3]
	v_and_b32_e32 v29, 0xffff0000, v30
	v_fma_f32 v30, v29, v41, v42
	s_mov_b32 s2, 0x7f800000
	v_and_b32_e32 v29, 0x7f800000, v30
	v_cmp_ne_u32_e32 vcc, s2, v29
                                        ; implicit-def: $vgpr29
	s_and_saveexec_b64 s[2:3], vcc
	s_xor_b64 s[2:3], exec, s[2:3]
; %bb.322:
	v_bfe_u32 v29, v30, 16, 1
	s_movk_i32 s4, 0x7fff
	v_add3_u32 v29, v30, v29, s4
                                        ; implicit-def: $vgpr30
; %bb.323:
	s_andn2_saveexec_b64 s[2:3], s[2:3]
; %bb.324:
	v_mov_b32_e32 v29, 0
	v_or_b32_e32 v36, 0x10000, v30
	v_cmp_eq_u32_sdwa vcc, v30, v29 src0_sel:WORD_0 src1_sel:DWORD
	v_cndmask_b32_e32 v29, v36, v30, vcc
; %bb.325:
	s_or_b64 exec, exec, s[2:3]
	v_and_b32_e32 v30, 0xffff0000, v31
	v_fma_f32 v31, v30, v41, v42
	s_mov_b32 s2, 0x7f800000
	v_and_b32_e32 v30, 0x7f800000, v31
	v_cmp_ne_u32_e32 vcc, s2, v30
                                        ; implicit-def: $vgpr30
	s_and_saveexec_b64 s[2:3], vcc
	s_xor_b64 s[2:3], exec, s[2:3]
; %bb.326:
	v_bfe_u32 v30, v31, 16, 1
	s_movk_i32 s4, 0x7fff
	v_add3_u32 v30, v31, v30, s4
                                        ; implicit-def: $vgpr31
; %bb.327:
	s_andn2_saveexec_b64 s[2:3], s[2:3]
; %bb.328:
	v_mov_b32_e32 v30, 0
	v_or_b32_e32 v36, 0x10000, v31
	v_cmp_eq_u32_sdwa vcc, v31, v30 src0_sel:WORD_0 src1_sel:DWORD
	v_cndmask_b32_e32 v30, v36, v31, vcc
; %bb.329:
	s_or_b64 exec, exec, s[2:3]
	v_and_b32_e32 v31, 0xffff0000, v32
	v_fma_f32 v32, v31, v41, v42
	s_mov_b32 s2, 0x7f800000
	v_and_b32_e32 v31, 0x7f800000, v32
	v_cmp_ne_u32_e32 vcc, s2, v31
                                        ; implicit-def: $vgpr31
	s_and_saveexec_b64 s[2:3], vcc
	s_xor_b64 s[2:3], exec, s[2:3]
; %bb.330:
	v_bfe_u32 v31, v32, 16, 1
	s_movk_i32 s4, 0x7fff
	v_add3_u32 v31, v32, v31, s4
                                        ; implicit-def: $vgpr32
; %bb.331:
	s_andn2_saveexec_b64 s[2:3], s[2:3]
; %bb.332:
	v_mov_b32_e32 v31, 0
	v_or_b32_e32 v36, 0x10000, v32
	v_cmp_eq_u32_sdwa vcc, v32, v31 src0_sel:WORD_0 src1_sel:DWORD
	v_cndmask_b32_e32 v31, v36, v32, vcc
; %bb.333:
	s_or_b64 exec, exec, s[2:3]
	v_and_b32_e32 v32, 0xffff0000, v33
	v_fma_f32 v33, v32, v41, v42
	s_mov_b32 s2, 0x7f800000
	v_and_b32_e32 v32, 0x7f800000, v33
	v_cmp_ne_u32_e32 vcc, s2, v32
                                        ; implicit-def: $vgpr32
	s_and_saveexec_b64 s[2:3], vcc
	s_xor_b64 s[2:3], exec, s[2:3]
; %bb.334:
	v_bfe_u32 v32, v33, 16, 1
	s_movk_i32 s4, 0x7fff
	v_add3_u32 v32, v33, v32, s4
                                        ; implicit-def: $vgpr33
; %bb.335:
	s_andn2_saveexec_b64 s[2:3], s[2:3]
; %bb.336:
	v_mov_b32_e32 v32, 0
	v_or_b32_e32 v36, 0x10000, v33
	v_cmp_eq_u32_sdwa vcc, v33, v32 src0_sel:WORD_0 src1_sel:DWORD
	v_cndmask_b32_e32 v32, v36, v33, vcc
; %bb.337:
	s_or_b64 exec, exec, s[2:3]
	v_and_b32_e32 v33, 0xffff0000, v35
	v_fma_f32 v35, v33, v41, v42
	s_mov_b32 s2, 0x7f800000
	v_and_b32_e32 v33, 0x7f800000, v35
	v_cmp_ne_u32_e32 vcc, s2, v33
                                        ; implicit-def: $vgpr33
	s_and_saveexec_b64 s[2:3], vcc
	s_xor_b64 s[2:3], exec, s[2:3]
; %bb.338:
	v_bfe_u32 v33, v35, 16, 1
	s_movk_i32 s4, 0x7fff
	v_add3_u32 v33, v35, v33, s4
                                        ; implicit-def: $vgpr35
; %bb.339:
	s_andn2_saveexec_b64 s[2:3], s[2:3]
; %bb.340:
	v_mov_b32_e32 v33, 0
	v_or_b32_e32 v36, 0x10000, v35
	v_cmp_eq_u32_sdwa vcc, v35, v33 src0_sel:WORD_0 src1_sel:DWORD
	v_cndmask_b32_e32 v33, v36, v35, vcc
; %bb.341:
	s_or_b64 exec, exec, s[2:3]
	v_mov_b32_e32 v36, 0xf000f
	v_mov_b32_e32 v38, 0x43004300
	;;#ASMSTART
	v_and_or_b32 v35, v5, v36, v38
	;;#ASMEND
	v_lshrrev_b32_e32 v37, 4, v5
	v_lshrrev_b32_e32 v39, 8, v5
	;; [unrolled: 1-line block ×3, first 2 shown]
	;;#ASMSTART
	v_and_or_b32 v37, v37, v36, v38
	;;#ASMEND
	;;#ASMSTART
	v_and_or_b32 v39, v39, v36, v38
	;;#ASMEND
	;; [unrolled: 3-line block ×3, first 2 shown]
	v_lshlrev_b32_e32 v5, 16, v35
	v_add_f32_e32 v36, 0xc3080000, v5
	s_mov_b32 s2, 0x7f800000
	v_and_b32_e32 v5, 0x7f800000, v36
	v_cmp_ne_u32_e32 vcc, s2, v5
                                        ; implicit-def: $vgpr5
	s_and_saveexec_b64 s[2:3], vcc
	s_xor_b64 s[2:3], exec, s[2:3]
; %bb.342:
	v_bfe_u32 v5, v36, 16, 1
	s_movk_i32 s4, 0x7fff
	v_add3_u32 v5, v36, v5, s4
                                        ; implicit-def: $vgpr36
; %bb.343:
	s_andn2_saveexec_b64 s[2:3], s[2:3]
; %bb.344:
	v_mov_b32_e32 v5, 0
	v_or_b32_e32 v38, 0x10000, v36
	v_cmp_eq_u32_sdwa vcc, v36, v5 src0_sel:WORD_0 src1_sel:DWORD
	v_cndmask_b32_e32 v5, v38, v36, vcc
; %bb.345:
	s_or_b64 exec, exec, s[2:3]
	v_and_b32_e32 v35, 0xffff0000, v35
	v_add_f32_e32 v36, 0xc3080000, v35
	s_mov_b32 s2, 0x7f800000
	v_and_b32_e32 v35, 0x7f800000, v36
	v_cmp_ne_u32_e32 vcc, s2, v35
                                        ; implicit-def: $vgpr35
	s_and_saveexec_b64 s[2:3], vcc
	s_xor_b64 s[2:3], exec, s[2:3]
; %bb.346:
	v_bfe_u32 v35, v36, 16, 1
	s_movk_i32 s4, 0x7fff
	v_add3_u32 v35, v36, v35, s4
                                        ; implicit-def: $vgpr36
; %bb.347:
	s_andn2_saveexec_b64 s[2:3], s[2:3]
; %bb.348:
	v_mov_b32_e32 v35, 0
	v_or_b32_e32 v38, 0x10000, v36
	v_cmp_eq_u32_sdwa vcc, v36, v35 src0_sel:WORD_0 src1_sel:DWORD
	v_cndmask_b32_e32 v35, v38, v36, vcc
; %bb.349:
	s_or_b64 exec, exec, s[2:3]
	v_lshlrev_b32_e32 v36, 16, v37
	v_add_f32_e32 v38, 0xc3080000, v36
	s_mov_b32 s2, 0x7f800000
	v_and_b32_e32 v36, 0x7f800000, v38
	v_cmp_ne_u32_e32 vcc, s2, v36
                                        ; implicit-def: $vgpr36
	s_and_saveexec_b64 s[2:3], vcc
	s_xor_b64 s[2:3], exec, s[2:3]
; %bb.350:
	v_bfe_u32 v36, v38, 16, 1
	s_movk_i32 s4, 0x7fff
	v_add3_u32 v36, v38, v36, s4
                                        ; implicit-def: $vgpr38
; %bb.351:
	s_andn2_saveexec_b64 s[2:3], s[2:3]
; %bb.352:
	v_mov_b32_e32 v36, 0
	v_or_b32_e32 v40, 0x10000, v38
	v_cmp_eq_u32_sdwa vcc, v38, v36 src0_sel:WORD_0 src1_sel:DWORD
	v_cndmask_b32_e32 v36, v40, v38, vcc
; %bb.353:
	s_or_b64 exec, exec, s[2:3]
	v_and_b32_e32 v37, 0xffff0000, v37
	v_add_f32_e32 v38, 0xc3080000, v37
	s_mov_b32 s2, 0x7f800000
	v_and_b32_e32 v37, 0x7f800000, v38
	v_cmp_ne_u32_e32 vcc, s2, v37
                                        ; implicit-def: $vgpr37
	s_and_saveexec_b64 s[2:3], vcc
	s_xor_b64 s[2:3], exec, s[2:3]
; %bb.354:
	v_bfe_u32 v37, v38, 16, 1
	s_movk_i32 s4, 0x7fff
	v_add3_u32 v37, v38, v37, s4
                                        ; implicit-def: $vgpr38
; %bb.355:
	s_andn2_saveexec_b64 s[2:3], s[2:3]
; %bb.356:
	v_mov_b32_e32 v37, 0
	v_or_b32_e32 v40, 0x10000, v38
	v_cmp_eq_u32_sdwa vcc, v38, v37 src0_sel:WORD_0 src1_sel:DWORD
	v_cndmask_b32_e32 v37, v40, v38, vcc
; %bb.357:
	s_or_b64 exec, exec, s[2:3]
	v_lshlrev_b32_e32 v38, 16, v39
	v_add_f32_e32 v40, 0xc3080000, v38
	s_mov_b32 s2, 0x7f800000
	v_and_b32_e32 v38, 0x7f800000, v40
	v_cmp_ne_u32_e32 vcc, s2, v38
                                        ; implicit-def: $vgpr38
	s_and_saveexec_b64 s[2:3], vcc
	s_xor_b64 s[2:3], exec, s[2:3]
; %bb.358:
	v_bfe_u32 v38, v40, 16, 1
	s_movk_i32 s4, 0x7fff
	v_add3_u32 v38, v40, v38, s4
                                        ; implicit-def: $vgpr40
; %bb.359:
	s_andn2_saveexec_b64 s[2:3], s[2:3]
; %bb.360:
	v_mov_b32_e32 v38, 0
	v_or_b32_e32 v44, 0x10000, v40
	v_cmp_eq_u32_sdwa vcc, v40, v38 src0_sel:WORD_0 src1_sel:DWORD
	v_cndmask_b32_e32 v38, v44, v40, vcc
; %bb.361:
	s_or_b64 exec, exec, s[2:3]
	v_and_b32_e32 v39, 0xffff0000, v39
	v_add_f32_e32 v40, 0xc3080000, v39
	s_mov_b32 s2, 0x7f800000
	v_and_b32_e32 v39, 0x7f800000, v40
	v_cmp_ne_u32_e32 vcc, s2, v39
                                        ; implicit-def: $vgpr39
	s_and_saveexec_b64 s[2:3], vcc
	s_xor_b64 s[2:3], exec, s[2:3]
; %bb.362:
	v_bfe_u32 v39, v40, 16, 1
	s_movk_i32 s4, 0x7fff
	v_add3_u32 v39, v40, v39, s4
                                        ; implicit-def: $vgpr40
; %bb.363:
	s_andn2_saveexec_b64 s[2:3], s[2:3]
; %bb.364:
	v_mov_b32_e32 v39, 0
	v_or_b32_e32 v44, 0x10000, v40
	v_cmp_eq_u32_sdwa vcc, v40, v39 src0_sel:WORD_0 src1_sel:DWORD
	v_cndmask_b32_e32 v39, v44, v40, vcc
; %bb.365:
	s_or_b64 exec, exec, s[2:3]
	v_lshlrev_b32_e32 v40, 16, v43
	v_add_f32_e32 v44, 0xc3080000, v40
	s_mov_b32 s2, 0x7f800000
	v_and_b32_e32 v40, 0x7f800000, v44
	v_cmp_ne_u32_e32 vcc, s2, v40
                                        ; implicit-def: $vgpr40
	s_and_saveexec_b64 s[2:3], vcc
	s_xor_b64 s[2:3], exec, s[2:3]
; %bb.366:
	v_bfe_u32 v40, v44, 16, 1
	s_movk_i32 s4, 0x7fff
	v_add3_u32 v40, v44, v40, s4
                                        ; implicit-def: $vgpr44
; %bb.367:
	s_andn2_saveexec_b64 s[2:3], s[2:3]
; %bb.368:
	v_mov_b32_e32 v40, 0
	v_or_b32_e32 v45, 0x10000, v44
	v_cmp_eq_u32_sdwa vcc, v44, v40 src0_sel:WORD_0 src1_sel:DWORD
	v_cndmask_b32_e32 v40, v45, v44, vcc
; %bb.369:
	s_or_b64 exec, exec, s[2:3]
	v_and_b32_e32 v43, 0xffff0000, v43
	v_add_f32_e32 v44, 0xc3080000, v43
	s_mov_b32 s2, 0x7f800000
	v_and_b32_e32 v43, 0x7f800000, v44
	v_cmp_ne_u32_e32 vcc, s2, v43
                                        ; implicit-def: $vgpr43
	s_and_saveexec_b64 s[2:3], vcc
	s_xor_b64 s[2:3], exec, s[2:3]
; %bb.370:
	v_bfe_u32 v43, v44, 16, 1
	s_movk_i32 s4, 0x7fff
	v_add3_u32 v43, v44, v43, s4
                                        ; implicit-def: $vgpr44
; %bb.371:
	s_andn2_saveexec_b64 s[2:3], s[2:3]
; %bb.372:
	v_mov_b32_e32 v43, 0
	v_or_b32_e32 v45, 0x10000, v44
	v_cmp_eq_u32_sdwa vcc, v44, v43 src0_sel:WORD_0 src1_sel:DWORD
	v_cndmask_b32_e32 v43, v45, v44, vcc
; %bb.373:
	s_or_b64 exec, exec, s[2:3]
	v_and_b32_e32 v5, 0xffff0000, v5
	v_fma_f32 v44, v5, v41, v42
	s_mov_b32 s2, 0x7f800000
	v_and_b32_e32 v5, 0x7f800000, v44
	v_cmp_ne_u32_e32 vcc, s2, v5
                                        ; implicit-def: $vgpr5
	s_and_saveexec_b64 s[2:3], vcc
	s_xor_b64 s[2:3], exec, s[2:3]
; %bb.374:
	v_bfe_u32 v5, v44, 16, 1
	s_movk_i32 s4, 0x7fff
	v_add3_u32 v5, v44, v5, s4
                                        ; implicit-def: $vgpr44
; %bb.375:
	s_andn2_saveexec_b64 s[2:3], s[2:3]
; %bb.376:
	v_mov_b32_e32 v5, 0
	v_or_b32_e32 v45, 0x10000, v44
	v_cmp_eq_u32_sdwa vcc, v44, v5 src0_sel:WORD_0 src1_sel:DWORD
	v_cndmask_b32_e32 v5, v45, v44, vcc
; %bb.377:
	s_or_b64 exec, exec, s[2:3]
	v_and_b32_e32 v35, 0xffff0000, v35
	v_fma_f32 v44, v35, v41, v42
	s_mov_b32 s2, 0x7f800000
	v_and_b32_e32 v35, 0x7f800000, v44
	v_cmp_ne_u32_e32 vcc, s2, v35
                                        ; implicit-def: $vgpr35
	s_and_saveexec_b64 s[2:3], vcc
	s_xor_b64 s[2:3], exec, s[2:3]
; %bb.378:
	v_bfe_u32 v35, v44, 16, 1
	s_movk_i32 s4, 0x7fff
	v_add3_u32 v35, v44, v35, s4
                                        ; implicit-def: $vgpr44
; %bb.379:
	s_andn2_saveexec_b64 s[2:3], s[2:3]
; %bb.380:
	v_mov_b32_e32 v35, 0
	v_or_b32_e32 v45, 0x10000, v44
	v_cmp_eq_u32_sdwa vcc, v44, v35 src0_sel:WORD_0 src1_sel:DWORD
	v_cndmask_b32_e32 v35, v45, v44, vcc
; %bb.381:
	s_or_b64 exec, exec, s[2:3]
	v_and_b32_e32 v36, 0xffff0000, v36
	v_fma_f32 v44, v36, v41, v42
	s_mov_b32 s2, 0x7f800000
	v_and_b32_e32 v36, 0x7f800000, v44
	v_cmp_ne_u32_e32 vcc, s2, v36
                                        ; implicit-def: $vgpr36
	s_and_saveexec_b64 s[2:3], vcc
	s_xor_b64 s[2:3], exec, s[2:3]
; %bb.382:
	v_bfe_u32 v36, v44, 16, 1
	s_movk_i32 s4, 0x7fff
	v_add3_u32 v36, v44, v36, s4
                                        ; implicit-def: $vgpr44
; %bb.383:
	s_andn2_saveexec_b64 s[2:3], s[2:3]
; %bb.384:
	v_mov_b32_e32 v36, 0
	v_or_b32_e32 v45, 0x10000, v44
	v_cmp_eq_u32_sdwa vcc, v44, v36 src0_sel:WORD_0 src1_sel:DWORD
	v_cndmask_b32_e32 v36, v45, v44, vcc
; %bb.385:
	s_or_b64 exec, exec, s[2:3]
	v_and_b32_e32 v37, 0xffff0000, v37
	v_fma_f32 v44, v37, v41, v42
	s_mov_b32 s2, 0x7f800000
	v_and_b32_e32 v37, 0x7f800000, v44
	v_cmp_ne_u32_e32 vcc, s2, v37
                                        ; implicit-def: $vgpr37
	s_and_saveexec_b64 s[2:3], vcc
	s_xor_b64 s[2:3], exec, s[2:3]
; %bb.386:
	v_bfe_u32 v37, v44, 16, 1
	s_movk_i32 s4, 0x7fff
	v_add3_u32 v37, v44, v37, s4
                                        ; implicit-def: $vgpr44
; %bb.387:
	s_andn2_saveexec_b64 s[2:3], s[2:3]
; %bb.388:
	v_mov_b32_e32 v37, 0
	v_or_b32_e32 v45, 0x10000, v44
	v_cmp_eq_u32_sdwa vcc, v44, v37 src0_sel:WORD_0 src1_sel:DWORD
	v_cndmask_b32_e32 v37, v45, v44, vcc
; %bb.389:
	s_or_b64 exec, exec, s[2:3]
	v_and_b32_e32 v38, 0xffff0000, v38
	v_fma_f32 v44, v38, v41, v42
	s_mov_b32 s2, 0x7f800000
	v_and_b32_e32 v38, 0x7f800000, v44
	v_cmp_ne_u32_e32 vcc, s2, v38
                                        ; implicit-def: $vgpr38
	s_and_saveexec_b64 s[2:3], vcc
	s_xor_b64 s[2:3], exec, s[2:3]
; %bb.390:
	v_bfe_u32 v38, v44, 16, 1
	s_movk_i32 s4, 0x7fff
	v_add3_u32 v38, v44, v38, s4
                                        ; implicit-def: $vgpr44
; %bb.391:
	s_andn2_saveexec_b64 s[2:3], s[2:3]
; %bb.392:
	v_mov_b32_e32 v38, 0
	v_or_b32_e32 v45, 0x10000, v44
	v_cmp_eq_u32_sdwa vcc, v44, v38 src0_sel:WORD_0 src1_sel:DWORD
	v_cndmask_b32_e32 v38, v45, v44, vcc
; %bb.393:
	s_or_b64 exec, exec, s[2:3]
	v_and_b32_e32 v39, 0xffff0000, v39
	v_fma_f32 v44, v39, v41, v42
	s_mov_b32 s2, 0x7f800000
	v_and_b32_e32 v39, 0x7f800000, v44
	v_cmp_ne_u32_e32 vcc, s2, v39
                                        ; implicit-def: $vgpr39
	s_and_saveexec_b64 s[2:3], vcc
	s_xor_b64 s[2:3], exec, s[2:3]
; %bb.394:
	v_bfe_u32 v39, v44, 16, 1
	s_movk_i32 s4, 0x7fff
	v_add3_u32 v39, v44, v39, s4
                                        ; implicit-def: $vgpr44
; %bb.395:
	s_andn2_saveexec_b64 s[2:3], s[2:3]
; %bb.396:
	v_mov_b32_e32 v39, 0
	v_or_b32_e32 v45, 0x10000, v44
	v_cmp_eq_u32_sdwa vcc, v44, v39 src0_sel:WORD_0 src1_sel:DWORD
	v_cndmask_b32_e32 v39, v45, v44, vcc
; %bb.397:
	s_or_b64 exec, exec, s[2:3]
	v_and_b32_e32 v40, 0xffff0000, v40
	v_fma_f32 v44, v40, v41, v42
	s_mov_b32 s2, 0x7f800000
	v_and_b32_e32 v40, 0x7f800000, v44
	v_cmp_ne_u32_e32 vcc, s2, v40
                                        ; implicit-def: $vgpr40
	s_and_saveexec_b64 s[2:3], vcc
	s_xor_b64 s[2:3], exec, s[2:3]
; %bb.398:
	v_bfe_u32 v40, v44, 16, 1
	s_movk_i32 s4, 0x7fff
	v_add3_u32 v40, v44, v40, s4
                                        ; implicit-def: $vgpr44
; %bb.399:
	s_andn2_saveexec_b64 s[2:3], s[2:3]
; %bb.400:
	v_mov_b32_e32 v40, 0
	v_or_b32_e32 v45, 0x10000, v44
	v_cmp_eq_u32_sdwa vcc, v44, v40 src0_sel:WORD_0 src1_sel:DWORD
	v_cndmask_b32_e32 v40, v45, v44, vcc
; %bb.401:
	s_or_b64 exec, exec, s[2:3]
	v_and_b32_e32 v43, 0xffff0000, v43
	v_fmac_f32_e32 v42, v43, v41
	s_mov_b32 s2, 0x7f800000
	v_and_b32_e32 v41, 0x7f800000, v42
	v_cmp_ne_u32_e32 vcc, s2, v41
                                        ; implicit-def: $vgpr41
	s_and_saveexec_b64 s[2:3], vcc
	s_xor_b64 s[2:3], exec, s[2:3]
; %bb.402:
	v_bfe_u32 v41, v42, 16, 1
	s_movk_i32 s4, 0x7fff
	v_add3_u32 v41, v42, v41, s4
                                        ; implicit-def: $vgpr42
; %bb.403:
	s_andn2_saveexec_b64 s[2:3], s[2:3]
; %bb.404:
	v_mov_b32_e32 v41, 0
	v_or_b32_e32 v43, 0x10000, v42
	v_cmp_eq_u32_sdwa vcc, v42, v41 src0_sel:WORD_0 src1_sel:DWORD
	v_cndmask_b32_e32 v41, v43, v42, vcc
; %bb.405:
	s_or_b64 exec, exec, s[2:3]
	v_lshrrev_b32_e32 v44, 4, v6
	v_mov_b32_e32 v42, 0xf000f
	v_mov_b32_e32 v45, 0x43004300
	;;#ASMSTART
	v_and_or_b32 v43, v6, v42, v45
	;;#ASMEND
	;;#ASMSTART
	v_and_or_b32 v46, v44, v42, v45
	;;#ASMEND
	v_lshrrev_b32_e32 v44, 8, v6
	v_lshrrev_b32_e32 v6, 12, v6
	;;#ASMSTART
	v_and_or_b32 v44, v44, v42, v45
	;;#ASMEND
	;;#ASMSTART
	v_and_or_b32 v42, v6, v42, v45
	;;#ASMEND
	v_lshlrev_b32_e32 v6, 16, v43
	v_add_f32_e32 v45, 0xc3080000, v6
	s_mov_b32 s2, 0x7f800000
	v_and_b32_e32 v6, 0x7f800000, v45
	v_cmp_ne_u32_e32 vcc, s2, v6
                                        ; implicit-def: $vgpr6
	s_and_saveexec_b64 s[2:3], vcc
	s_xor_b64 s[2:3], exec, s[2:3]
; %bb.406:
	v_bfe_u32 v6, v45, 16, 1
	s_movk_i32 s4, 0x7fff
	v_add3_u32 v6, v45, v6, s4
                                        ; implicit-def: $vgpr45
; %bb.407:
	s_andn2_saveexec_b64 s[2:3], s[2:3]
; %bb.408:
	v_mov_b32_e32 v6, 0
	v_or_b32_e32 v47, 0x10000, v45
	v_cmp_eq_u32_sdwa vcc, v45, v6 src0_sel:WORD_0 src1_sel:DWORD
	v_cndmask_b32_e32 v6, v47, v45, vcc
; %bb.409:
	s_or_b64 exec, exec, s[2:3]
	v_and_b32_e32 v43, 0xffff0000, v43
	v_add_f32_e32 v45, 0xc3080000, v43
	s_mov_b32 s2, 0x7f800000
	v_and_b32_e32 v43, 0x7f800000, v45
	v_cmp_ne_u32_e32 vcc, s2, v43
                                        ; implicit-def: $vgpr43
	s_and_saveexec_b64 s[2:3], vcc
	s_xor_b64 s[2:3], exec, s[2:3]
; %bb.410:
	v_bfe_u32 v43, v45, 16, 1
	s_movk_i32 s4, 0x7fff
	v_add3_u32 v43, v45, v43, s4
                                        ; implicit-def: $vgpr45
; %bb.411:
	s_andn2_saveexec_b64 s[2:3], s[2:3]
; %bb.412:
	v_mov_b32_e32 v43, 0
	v_or_b32_e32 v47, 0x10000, v45
	v_cmp_eq_u32_sdwa vcc, v45, v43 src0_sel:WORD_0 src1_sel:DWORD
	v_cndmask_b32_e32 v43, v47, v45, vcc
; %bb.413:
	s_or_b64 exec, exec, s[2:3]
	v_lshlrev_b32_e32 v45, 16, v46
	v_add_f32_e32 v47, 0xc3080000, v45
	s_mov_b32 s2, 0x7f800000
	v_and_b32_e32 v45, 0x7f800000, v47
	v_cmp_ne_u32_e32 vcc, s2, v45
                                        ; implicit-def: $vgpr45
	s_and_saveexec_b64 s[2:3], vcc
	s_xor_b64 s[2:3], exec, s[2:3]
; %bb.414:
	v_bfe_u32 v45, v47, 16, 1
	s_movk_i32 s4, 0x7fff
	v_add3_u32 v45, v47, v45, s4
                                        ; implicit-def: $vgpr47
; %bb.415:
	s_andn2_saveexec_b64 s[2:3], s[2:3]
; %bb.416:
	v_mov_b32_e32 v45, 0
	v_or_b32_e32 v48, 0x10000, v47
	v_cmp_eq_u32_sdwa vcc, v47, v45 src0_sel:WORD_0 src1_sel:DWORD
	v_cndmask_b32_e32 v45, v48, v47, vcc
; %bb.417:
	s_or_b64 exec, exec, s[2:3]
	v_and_b32_e32 v46, 0xffff0000, v46
	v_add_f32_e32 v47, 0xc3080000, v46
	s_mov_b32 s2, 0x7f800000
	v_and_b32_e32 v46, 0x7f800000, v47
	v_cmp_ne_u32_e32 vcc, s2, v46
                                        ; implicit-def: $vgpr46
	s_and_saveexec_b64 s[2:3], vcc
	s_xor_b64 s[2:3], exec, s[2:3]
; %bb.418:
	v_bfe_u32 v46, v47, 16, 1
	s_movk_i32 s4, 0x7fff
	v_add3_u32 v46, v47, v46, s4
                                        ; implicit-def: $vgpr47
; %bb.419:
	s_andn2_saveexec_b64 s[2:3], s[2:3]
; %bb.420:
	v_mov_b32_e32 v46, 0
	v_or_b32_e32 v48, 0x10000, v47
	v_cmp_eq_u32_sdwa vcc, v47, v46 src0_sel:WORD_0 src1_sel:DWORD
	v_cndmask_b32_e32 v46, v48, v47, vcc
; %bb.421:
	s_or_b64 exec, exec, s[2:3]
	v_lshlrev_b32_e32 v47, 16, v44
	v_add_f32_e32 v48, 0xc3080000, v47
	s_mov_b32 s2, 0x7f800000
	v_and_b32_e32 v47, 0x7f800000, v48
	v_cmp_ne_u32_e32 vcc, s2, v47
                                        ; implicit-def: $vgpr47
	s_and_saveexec_b64 s[2:3], vcc
	s_xor_b64 s[2:3], exec, s[2:3]
; %bb.422:
	v_bfe_u32 v47, v48, 16, 1
	s_movk_i32 s4, 0x7fff
	v_add3_u32 v47, v48, v47, s4
                                        ; implicit-def: $vgpr48
; %bb.423:
	s_andn2_saveexec_b64 s[2:3], s[2:3]
; %bb.424:
	v_mov_b32_e32 v47, 0
	v_or_b32_e32 v49, 0x10000, v48
	v_cmp_eq_u32_sdwa vcc, v48, v47 src0_sel:WORD_0 src1_sel:DWORD
	v_cndmask_b32_e32 v47, v49, v48, vcc
; %bb.425:
	s_or_b64 exec, exec, s[2:3]
	v_and_b32_e32 v44, 0xffff0000, v44
	v_add_f32_e32 v44, 0xc3080000, v44
	s_mov_b32 s2, 0x7f800000
	v_and_b32_e32 v48, 0x7f800000, v44
	v_cmp_ne_u32_e32 vcc, s2, v48
                                        ; implicit-def: $vgpr48
	s_and_saveexec_b64 s[2:3], vcc
	s_xor_b64 s[2:3], exec, s[2:3]
; %bb.426:
	v_bfe_u32 v48, v44, 16, 1
	s_movk_i32 s4, 0x7fff
	v_add3_u32 v48, v44, v48, s4
                                        ; implicit-def: $vgpr44
; %bb.427:
	s_andn2_saveexec_b64 s[2:3], s[2:3]
; %bb.428:
	v_mov_b32_e32 v48, 0
	v_or_b32_e32 v49, 0x10000, v44
	v_cmp_eq_u32_sdwa vcc, v44, v48 src0_sel:WORD_0 src1_sel:DWORD
	v_cndmask_b32_e32 v48, v49, v44, vcc
; %bb.429:
	s_or_b64 exec, exec, s[2:3]
	v_lshlrev_b32_e32 v44, 16, v42
	v_add_f32_e32 v44, 0xc3080000, v44
	s_mov_b32 s2, 0x7f800000
	v_and_b32_e32 v49, 0x7f800000, v44
	v_cmp_ne_u32_e32 vcc, s2, v49
                                        ; implicit-def: $vgpr49
	s_and_saveexec_b64 s[2:3], vcc
	s_xor_b64 s[2:3], exec, s[2:3]
; %bb.430:
	v_bfe_u32 v49, v44, 16, 1
	s_movk_i32 s4, 0x7fff
	v_add3_u32 v49, v44, v49, s4
                                        ; implicit-def: $vgpr44
; %bb.431:
	s_andn2_saveexec_b64 s[2:3], s[2:3]
; %bb.432:
	v_mov_b32_e32 v49, 0
	v_or_b32_e32 v50, 0x10000, v44
	v_cmp_eq_u32_sdwa vcc, v44, v49 src0_sel:WORD_0 src1_sel:DWORD
	v_cndmask_b32_e32 v49, v50, v44, vcc
; %bb.433:
	s_or_b64 exec, exec, s[2:3]
	v_and_b32_e32 v42, 0xffff0000, v42
	v_add_f32_e32 v42, 0xc3080000, v42
	s_mov_b32 s2, 0x7f800000
	v_and_b32_e32 v44, 0x7f800000, v42
	v_cmp_ne_u32_e32 vcc, s2, v44
                                        ; implicit-def: $vgpr50
	s_and_saveexec_b64 s[2:3], vcc
	s_xor_b64 s[2:3], exec, s[2:3]
; %bb.434:
	v_bfe_u32 v44, v42, 16, 1
	s_movk_i32 s4, 0x7fff
	v_add3_u32 v50, v42, v44, s4
                                        ; implicit-def: $vgpr42
; %bb.435:
	s_andn2_saveexec_b64 s[2:3], s[2:3]
; %bb.436:
	v_mov_b32_e32 v44, 0
	v_or_b32_e32 v50, 0x10000, v42
	v_cmp_eq_u32_sdwa vcc, v42, v44 src0_sel:WORD_0 src1_sel:DWORD
	v_cndmask_b32_e32 v50, v50, v42, vcc
; %bb.437:
	s_or_b64 exec, exec, s[2:3]
	v_and_b32_e32 v6, 0xffff0000, v6
	s_waitcnt vmcnt(0)
	v_lshlrev_b32_e32 v44, 16, v34
	v_and_b32_e32 v42, 0xffff0000, v34
	v_fma_f32 v34, v6, v44, v42
	s_mov_b32 s2, 0x7f800000
	v_and_b32_e32 v6, 0x7f800000, v34
	v_cmp_ne_u32_e32 vcc, s2, v6
                                        ; implicit-def: $vgpr6
	s_and_saveexec_b64 s[2:3], vcc
	s_xor_b64 s[2:3], exec, s[2:3]
; %bb.438:
	v_bfe_u32 v6, v34, 16, 1
	s_movk_i32 s4, 0x7fff
	v_add3_u32 v6, v34, v6, s4
                                        ; implicit-def: $vgpr34
; %bb.439:
	s_andn2_saveexec_b64 s[2:3], s[2:3]
; %bb.440:
	v_mov_b32_e32 v6, 0
	v_or_b32_e32 v51, 0x10000, v34
	v_cmp_eq_u32_sdwa vcc, v34, v6 src0_sel:WORD_0 src1_sel:DWORD
	v_cndmask_b32_e32 v6, v51, v34, vcc
; %bb.441:
	s_or_b64 exec, exec, s[2:3]
	v_and_b32_e32 v34, 0xffff0000, v43
	v_fma_f32 v43, v34, v44, v42
	s_mov_b32 s2, 0x7f800000
	v_and_b32_e32 v34, 0x7f800000, v43
	v_cmp_ne_u32_e32 vcc, s2, v34
                                        ; implicit-def: $vgpr34
	s_and_saveexec_b64 s[2:3], vcc
	s_xor_b64 s[2:3], exec, s[2:3]
; %bb.442:
	v_bfe_u32 v34, v43, 16, 1
	s_movk_i32 s4, 0x7fff
	v_add3_u32 v34, v43, v34, s4
                                        ; implicit-def: $vgpr43
; %bb.443:
	s_andn2_saveexec_b64 s[2:3], s[2:3]
; %bb.444:
	v_mov_b32_e32 v34, 0
	v_or_b32_e32 v51, 0x10000, v43
	v_cmp_eq_u32_sdwa vcc, v43, v34 src0_sel:WORD_0 src1_sel:DWORD
	v_cndmask_b32_e32 v34, v51, v43, vcc
; %bb.445:
	s_or_b64 exec, exec, s[2:3]
	v_and_b32_e32 v43, 0xffff0000, v45
	v_fma_f32 v45, v43, v44, v42
	s_mov_b32 s2, 0x7f800000
	v_and_b32_e32 v43, 0x7f800000, v45
	v_cmp_ne_u32_e32 vcc, s2, v43
                                        ; implicit-def: $vgpr43
	s_and_saveexec_b64 s[2:3], vcc
	s_xor_b64 s[2:3], exec, s[2:3]
; %bb.446:
	v_bfe_u32 v43, v45, 16, 1
	s_movk_i32 s4, 0x7fff
	v_add3_u32 v43, v45, v43, s4
                                        ; implicit-def: $vgpr45
; %bb.447:
	s_andn2_saveexec_b64 s[2:3], s[2:3]
; %bb.448:
	v_mov_b32_e32 v43, 0
	v_or_b32_e32 v51, 0x10000, v45
	v_cmp_eq_u32_sdwa vcc, v45, v43 src0_sel:WORD_0 src1_sel:DWORD
	v_cndmask_b32_e32 v43, v51, v45, vcc
; %bb.449:
	s_or_b64 exec, exec, s[2:3]
	v_and_b32_e32 v45, 0xffff0000, v46
	v_fma_f32 v46, v45, v44, v42
	s_mov_b32 s2, 0x7f800000
	v_and_b32_e32 v45, 0x7f800000, v46
	v_cmp_ne_u32_e32 vcc, s2, v45
                                        ; implicit-def: $vgpr45
	s_and_saveexec_b64 s[2:3], vcc
	s_xor_b64 s[2:3], exec, s[2:3]
; %bb.450:
	v_bfe_u32 v45, v46, 16, 1
	s_movk_i32 s4, 0x7fff
	v_add3_u32 v45, v46, v45, s4
                                        ; implicit-def: $vgpr46
; %bb.451:
	s_andn2_saveexec_b64 s[2:3], s[2:3]
; %bb.452:
	v_mov_b32_e32 v45, 0
	v_or_b32_e32 v51, 0x10000, v46
	v_cmp_eq_u32_sdwa vcc, v46, v45 src0_sel:WORD_0 src1_sel:DWORD
	v_cndmask_b32_e32 v45, v51, v46, vcc
; %bb.453:
	s_or_b64 exec, exec, s[2:3]
	v_and_b32_e32 v46, 0xffff0000, v47
	v_fma_f32 v47, v46, v44, v42
	s_mov_b32 s2, 0x7f800000
	v_and_b32_e32 v46, 0x7f800000, v47
	v_cmp_ne_u32_e32 vcc, s2, v46
                                        ; implicit-def: $vgpr46
	s_and_saveexec_b64 s[2:3], vcc
	s_xor_b64 s[2:3], exec, s[2:3]
; %bb.454:
	v_bfe_u32 v46, v47, 16, 1
	s_movk_i32 s4, 0x7fff
	v_add3_u32 v46, v47, v46, s4
                                        ; implicit-def: $vgpr47
; %bb.455:
	s_andn2_saveexec_b64 s[2:3], s[2:3]
; %bb.456:
	v_mov_b32_e32 v46, 0
	v_or_b32_e32 v51, 0x10000, v47
	v_cmp_eq_u32_sdwa vcc, v47, v46 src0_sel:WORD_0 src1_sel:DWORD
	v_cndmask_b32_e32 v46, v51, v47, vcc
; %bb.457:
	s_or_b64 exec, exec, s[2:3]
	v_and_b32_e32 v47, 0xffff0000, v48
	v_fma_f32 v48, v47, v44, v42
	s_mov_b32 s2, 0x7f800000
	v_and_b32_e32 v47, 0x7f800000, v48
	v_cmp_ne_u32_e32 vcc, s2, v47
                                        ; implicit-def: $vgpr47
	s_and_saveexec_b64 s[2:3], vcc
	s_xor_b64 s[2:3], exec, s[2:3]
; %bb.458:
	v_bfe_u32 v47, v48, 16, 1
	s_movk_i32 s4, 0x7fff
	v_add3_u32 v47, v48, v47, s4
                                        ; implicit-def: $vgpr48
; %bb.459:
	s_andn2_saveexec_b64 s[2:3], s[2:3]
; %bb.460:
	v_mov_b32_e32 v47, 0
	v_or_b32_e32 v51, 0x10000, v48
	v_cmp_eq_u32_sdwa vcc, v48, v47 src0_sel:WORD_0 src1_sel:DWORD
	v_cndmask_b32_e32 v47, v51, v48, vcc
; %bb.461:
	s_or_b64 exec, exec, s[2:3]
	v_and_b32_e32 v48, 0xffff0000, v49
	v_fma_f32 v49, v48, v44, v42
	s_mov_b32 s2, 0x7f800000
	v_and_b32_e32 v48, 0x7f800000, v49
	v_cmp_ne_u32_e32 vcc, s2, v48
                                        ; implicit-def: $vgpr48
	s_and_saveexec_b64 s[2:3], vcc
	s_xor_b64 s[2:3], exec, s[2:3]
; %bb.462:
	v_bfe_u32 v48, v49, 16, 1
	s_movk_i32 s4, 0x7fff
	v_add3_u32 v48, v49, v48, s4
                                        ; implicit-def: $vgpr49
; %bb.463:
	s_andn2_saveexec_b64 s[2:3], s[2:3]
; %bb.464:
	v_mov_b32_e32 v48, 0
	v_or_b32_e32 v51, 0x10000, v49
	v_cmp_eq_u32_sdwa vcc, v49, v48 src0_sel:WORD_0 src1_sel:DWORD
	v_cndmask_b32_e32 v48, v51, v49, vcc
; %bb.465:
	s_or_b64 exec, exec, s[2:3]
	v_and_b32_e32 v49, 0xffff0000, v50
	v_fma_f32 v50, v49, v44, v42
	s_mov_b32 s2, 0x7f800000
	v_and_b32_e32 v49, 0x7f800000, v50
	v_cmp_ne_u32_e32 vcc, s2, v49
                                        ; implicit-def: $vgpr49
	s_and_saveexec_b64 s[2:3], vcc
	s_xor_b64 s[2:3], exec, s[2:3]
; %bb.466:
	v_bfe_u32 v49, v50, 16, 1
	s_movk_i32 s4, 0x7fff
	v_add3_u32 v49, v50, v49, s4
                                        ; implicit-def: $vgpr50
; %bb.467:
	s_andn2_saveexec_b64 s[2:3], s[2:3]
; %bb.468:
	v_mov_b32_e32 v49, 0
	v_or_b32_e32 v51, 0x10000, v50
	v_cmp_eq_u32_sdwa vcc, v50, v49 src0_sel:WORD_0 src1_sel:DWORD
	v_cndmask_b32_e32 v49, v51, v50, vcc
; %bb.469:
	s_or_b64 exec, exec, s[2:3]
	v_mov_b32_e32 v51, 0xf000f
	v_mov_b32_e32 v53, 0x43004300
	;;#ASMSTART
	v_and_or_b32 v50, v7, v51, v53
	;;#ASMEND
	v_lshrrev_b32_e32 v52, 4, v7
	v_lshrrev_b32_e32 v54, 8, v7
	;; [unrolled: 1-line block ×3, first 2 shown]
	;;#ASMSTART
	v_and_or_b32 v52, v52, v51, v53
	;;#ASMEND
	;;#ASMSTART
	v_and_or_b32 v54, v54, v51, v53
	;;#ASMEND
	;; [unrolled: 3-line block ×3, first 2 shown]
	v_lshlrev_b32_e32 v7, 16, v50
	v_add_f32_e32 v51, 0xc3080000, v7
	s_mov_b32 s2, 0x7f800000
	v_and_b32_e32 v7, 0x7f800000, v51
	v_cmp_ne_u32_e32 vcc, s2, v7
                                        ; implicit-def: $vgpr7
	s_and_saveexec_b64 s[2:3], vcc
	s_xor_b64 s[2:3], exec, s[2:3]
; %bb.470:
	v_bfe_u32 v7, v51, 16, 1
	s_movk_i32 s4, 0x7fff
	v_add3_u32 v7, v51, v7, s4
                                        ; implicit-def: $vgpr51
; %bb.471:
	s_andn2_saveexec_b64 s[2:3], s[2:3]
; %bb.472:
	v_mov_b32_e32 v7, 0
	v_or_b32_e32 v53, 0x10000, v51
	v_cmp_eq_u32_sdwa vcc, v51, v7 src0_sel:WORD_0 src1_sel:DWORD
	v_cndmask_b32_e32 v7, v53, v51, vcc
; %bb.473:
	s_or_b64 exec, exec, s[2:3]
	v_and_b32_e32 v50, 0xffff0000, v50
	v_add_f32_e32 v51, 0xc3080000, v50
	s_mov_b32 s2, 0x7f800000
	v_and_b32_e32 v50, 0x7f800000, v51
	v_cmp_ne_u32_e32 vcc, s2, v50
                                        ; implicit-def: $vgpr50
	s_and_saveexec_b64 s[2:3], vcc
	s_xor_b64 s[2:3], exec, s[2:3]
; %bb.474:
	v_bfe_u32 v50, v51, 16, 1
	s_movk_i32 s4, 0x7fff
	v_add3_u32 v50, v51, v50, s4
                                        ; implicit-def: $vgpr51
; %bb.475:
	s_andn2_saveexec_b64 s[2:3], s[2:3]
; %bb.476:
	v_mov_b32_e32 v50, 0
	v_or_b32_e32 v53, 0x10000, v51
	v_cmp_eq_u32_sdwa vcc, v51, v50 src0_sel:WORD_0 src1_sel:DWORD
	v_cndmask_b32_e32 v50, v53, v51, vcc
; %bb.477:
	s_or_b64 exec, exec, s[2:3]
	v_lshlrev_b32_e32 v51, 16, v52
	v_add_f32_e32 v53, 0xc3080000, v51
	s_mov_b32 s2, 0x7f800000
	v_and_b32_e32 v51, 0x7f800000, v53
	v_cmp_ne_u32_e32 vcc, s2, v51
                                        ; implicit-def: $vgpr51
	s_and_saveexec_b64 s[2:3], vcc
	s_xor_b64 s[2:3], exec, s[2:3]
; %bb.478:
	v_bfe_u32 v51, v53, 16, 1
	s_movk_i32 s4, 0x7fff
	v_add3_u32 v51, v53, v51, s4
                                        ; implicit-def: $vgpr53
; %bb.479:
	s_andn2_saveexec_b64 s[2:3], s[2:3]
; %bb.480:
	v_mov_b32_e32 v51, 0
	v_or_b32_e32 v55, 0x10000, v53
	v_cmp_eq_u32_sdwa vcc, v53, v51 src0_sel:WORD_0 src1_sel:DWORD
	v_cndmask_b32_e32 v51, v55, v53, vcc
; %bb.481:
	s_or_b64 exec, exec, s[2:3]
	v_and_b32_e32 v52, 0xffff0000, v52
	v_add_f32_e32 v53, 0xc3080000, v52
	s_mov_b32 s2, 0x7f800000
	v_and_b32_e32 v52, 0x7f800000, v53
	v_cmp_ne_u32_e32 vcc, s2, v52
                                        ; implicit-def: $vgpr52
	s_and_saveexec_b64 s[2:3], vcc
	s_xor_b64 s[2:3], exec, s[2:3]
; %bb.482:
	v_bfe_u32 v52, v53, 16, 1
	s_movk_i32 s4, 0x7fff
	v_add3_u32 v52, v53, v52, s4
                                        ; implicit-def: $vgpr53
; %bb.483:
	s_andn2_saveexec_b64 s[2:3], s[2:3]
; %bb.484:
	v_mov_b32_e32 v52, 0
	v_or_b32_e32 v55, 0x10000, v53
	v_cmp_eq_u32_sdwa vcc, v53, v52 src0_sel:WORD_0 src1_sel:DWORD
	v_cndmask_b32_e32 v52, v55, v53, vcc
; %bb.485:
	s_or_b64 exec, exec, s[2:3]
	v_lshlrev_b32_e32 v53, 16, v54
	v_add_f32_e32 v55, 0xc3080000, v53
	s_mov_b32 s2, 0x7f800000
	v_and_b32_e32 v53, 0x7f800000, v55
	v_cmp_ne_u32_e32 vcc, s2, v53
                                        ; implicit-def: $vgpr53
	s_and_saveexec_b64 s[2:3], vcc
	s_xor_b64 s[2:3], exec, s[2:3]
; %bb.486:
	v_bfe_u32 v53, v55, 16, 1
	s_movk_i32 s4, 0x7fff
	v_add3_u32 v53, v55, v53, s4
                                        ; implicit-def: $vgpr55
; %bb.487:
	s_andn2_saveexec_b64 s[2:3], s[2:3]
; %bb.488:
	v_mov_b32_e32 v53, 0
	v_or_b32_e32 v57, 0x10000, v55
	v_cmp_eq_u32_sdwa vcc, v55, v53 src0_sel:WORD_0 src1_sel:DWORD
	v_cndmask_b32_e32 v53, v57, v55, vcc
; %bb.489:
	s_or_b64 exec, exec, s[2:3]
	v_and_b32_e32 v54, 0xffff0000, v54
	v_add_f32_e32 v55, 0xc3080000, v54
	s_mov_b32 s2, 0x7f800000
	v_and_b32_e32 v54, 0x7f800000, v55
	v_cmp_ne_u32_e32 vcc, s2, v54
                                        ; implicit-def: $vgpr54
	s_and_saveexec_b64 s[2:3], vcc
	s_xor_b64 s[2:3], exec, s[2:3]
; %bb.490:
	v_bfe_u32 v54, v55, 16, 1
	s_movk_i32 s4, 0x7fff
	v_add3_u32 v54, v55, v54, s4
                                        ; implicit-def: $vgpr55
; %bb.491:
	s_andn2_saveexec_b64 s[2:3], s[2:3]
; %bb.492:
	v_mov_b32_e32 v54, 0
	v_or_b32_e32 v57, 0x10000, v55
	v_cmp_eq_u32_sdwa vcc, v55, v54 src0_sel:WORD_0 src1_sel:DWORD
	v_cndmask_b32_e32 v54, v57, v55, vcc
; %bb.493:
	s_or_b64 exec, exec, s[2:3]
	v_lshlrev_b32_e32 v55, 16, v56
	v_add_f32_e32 v57, 0xc3080000, v55
	s_mov_b32 s2, 0x7f800000
	v_and_b32_e32 v55, 0x7f800000, v57
	v_cmp_ne_u32_e32 vcc, s2, v55
                                        ; implicit-def: $vgpr55
	s_and_saveexec_b64 s[2:3], vcc
	s_xor_b64 s[2:3], exec, s[2:3]
; %bb.494:
	v_bfe_u32 v55, v57, 16, 1
	s_movk_i32 s4, 0x7fff
	v_add3_u32 v55, v57, v55, s4
                                        ; implicit-def: $vgpr57
; %bb.495:
	s_andn2_saveexec_b64 s[2:3], s[2:3]
; %bb.496:
	v_mov_b32_e32 v55, 0
	v_or_b32_e32 v58, 0x10000, v57
	v_cmp_eq_u32_sdwa vcc, v57, v55 src0_sel:WORD_0 src1_sel:DWORD
	v_cndmask_b32_e32 v55, v58, v57, vcc
; %bb.497:
	s_or_b64 exec, exec, s[2:3]
	v_and_b32_e32 v56, 0xffff0000, v56
	v_add_f32_e32 v57, 0xc3080000, v56
	s_mov_b32 s2, 0x7f800000
	v_and_b32_e32 v56, 0x7f800000, v57
	v_cmp_ne_u32_e32 vcc, s2, v56
                                        ; implicit-def: $vgpr56
	s_and_saveexec_b64 s[2:3], vcc
	s_xor_b64 s[2:3], exec, s[2:3]
; %bb.498:
	v_bfe_u32 v56, v57, 16, 1
	s_movk_i32 s4, 0x7fff
	v_add3_u32 v56, v57, v56, s4
                                        ; implicit-def: $vgpr57
; %bb.499:
	s_andn2_saveexec_b64 s[2:3], s[2:3]
; %bb.500:
	v_mov_b32_e32 v56, 0
	v_or_b32_e32 v58, 0x10000, v57
	v_cmp_eq_u32_sdwa vcc, v57, v56 src0_sel:WORD_0 src1_sel:DWORD
	v_cndmask_b32_e32 v56, v58, v57, vcc
; %bb.501:
	s_or_b64 exec, exec, s[2:3]
	v_and_b32_e32 v7, 0xffff0000, v7
	v_fma_f32 v57, v7, v44, v42
	s_mov_b32 s2, 0x7f800000
	v_and_b32_e32 v7, 0x7f800000, v57
	v_cmp_ne_u32_e32 vcc, s2, v7
                                        ; implicit-def: $vgpr7
	s_and_saveexec_b64 s[2:3], vcc
	s_xor_b64 s[2:3], exec, s[2:3]
; %bb.502:
	v_bfe_u32 v7, v57, 16, 1
	s_movk_i32 s4, 0x7fff
	v_add3_u32 v7, v57, v7, s4
                                        ; implicit-def: $vgpr57
; %bb.503:
	s_andn2_saveexec_b64 s[2:3], s[2:3]
; %bb.504:
	v_mov_b32_e32 v7, 0
	v_or_b32_e32 v58, 0x10000, v57
	v_cmp_eq_u32_sdwa vcc, v57, v7 src0_sel:WORD_0 src1_sel:DWORD
	v_cndmask_b32_e32 v7, v58, v57, vcc
; %bb.505:
	s_or_b64 exec, exec, s[2:3]
	v_and_b32_e32 v50, 0xffff0000, v50
	v_fma_f32 v57, v50, v44, v42
	s_mov_b32 s2, 0x7f800000
	v_and_b32_e32 v50, 0x7f800000, v57
	v_cmp_ne_u32_e32 vcc, s2, v50
                                        ; implicit-def: $vgpr50
	s_and_saveexec_b64 s[2:3], vcc
	s_xor_b64 s[2:3], exec, s[2:3]
; %bb.506:
	v_bfe_u32 v50, v57, 16, 1
	s_movk_i32 s4, 0x7fff
	v_add3_u32 v50, v57, v50, s4
                                        ; implicit-def: $vgpr57
; %bb.507:
	s_andn2_saveexec_b64 s[2:3], s[2:3]
; %bb.508:
	v_mov_b32_e32 v50, 0
	v_or_b32_e32 v58, 0x10000, v57
	v_cmp_eq_u32_sdwa vcc, v57, v50 src0_sel:WORD_0 src1_sel:DWORD
	v_cndmask_b32_e32 v50, v58, v57, vcc
; %bb.509:
	s_or_b64 exec, exec, s[2:3]
	v_and_b32_e32 v51, 0xffff0000, v51
	v_fma_f32 v57, v51, v44, v42
	s_mov_b32 s2, 0x7f800000
	v_and_b32_e32 v51, 0x7f800000, v57
	v_cmp_ne_u32_e32 vcc, s2, v51
                                        ; implicit-def: $vgpr51
	s_and_saveexec_b64 s[2:3], vcc
	s_xor_b64 s[2:3], exec, s[2:3]
; %bb.510:
	v_bfe_u32 v51, v57, 16, 1
	s_movk_i32 s4, 0x7fff
	v_add3_u32 v51, v57, v51, s4
                                        ; implicit-def: $vgpr57
; %bb.511:
	s_andn2_saveexec_b64 s[2:3], s[2:3]
; %bb.512:
	v_mov_b32_e32 v51, 0
	v_or_b32_e32 v58, 0x10000, v57
	v_cmp_eq_u32_sdwa vcc, v57, v51 src0_sel:WORD_0 src1_sel:DWORD
	v_cndmask_b32_e32 v51, v58, v57, vcc
; %bb.513:
	s_or_b64 exec, exec, s[2:3]
	v_and_b32_e32 v52, 0xffff0000, v52
	v_fma_f32 v57, v52, v44, v42
	s_mov_b32 s2, 0x7f800000
	v_and_b32_e32 v52, 0x7f800000, v57
	v_cmp_ne_u32_e32 vcc, s2, v52
                                        ; implicit-def: $vgpr52
	s_and_saveexec_b64 s[2:3], vcc
	s_xor_b64 s[2:3], exec, s[2:3]
; %bb.514:
	v_bfe_u32 v52, v57, 16, 1
	s_movk_i32 s4, 0x7fff
	v_add3_u32 v52, v57, v52, s4
                                        ; implicit-def: $vgpr57
; %bb.515:
	s_andn2_saveexec_b64 s[2:3], s[2:3]
; %bb.516:
	v_mov_b32_e32 v52, 0
	v_or_b32_e32 v58, 0x10000, v57
	v_cmp_eq_u32_sdwa vcc, v57, v52 src0_sel:WORD_0 src1_sel:DWORD
	v_cndmask_b32_e32 v52, v58, v57, vcc
; %bb.517:
	s_or_b64 exec, exec, s[2:3]
	v_and_b32_e32 v53, 0xffff0000, v53
	v_fma_f32 v57, v53, v44, v42
	s_mov_b32 s2, 0x7f800000
	v_and_b32_e32 v53, 0x7f800000, v57
	v_cmp_ne_u32_e32 vcc, s2, v53
                                        ; implicit-def: $vgpr53
	s_and_saveexec_b64 s[2:3], vcc
	s_xor_b64 s[2:3], exec, s[2:3]
; %bb.518:
	v_bfe_u32 v53, v57, 16, 1
	s_movk_i32 s4, 0x7fff
	v_add3_u32 v53, v57, v53, s4
                                        ; implicit-def: $vgpr57
; %bb.519:
	s_andn2_saveexec_b64 s[2:3], s[2:3]
; %bb.520:
	v_mov_b32_e32 v53, 0
	v_or_b32_e32 v58, 0x10000, v57
	v_cmp_eq_u32_sdwa vcc, v57, v53 src0_sel:WORD_0 src1_sel:DWORD
	v_cndmask_b32_e32 v53, v58, v57, vcc
; %bb.521:
	s_or_b64 exec, exec, s[2:3]
	v_and_b32_e32 v54, 0xffff0000, v54
	v_fma_f32 v57, v54, v44, v42
	s_mov_b32 s2, 0x7f800000
	v_and_b32_e32 v54, 0x7f800000, v57
	v_cmp_ne_u32_e32 vcc, s2, v54
                                        ; implicit-def: $vgpr54
	s_and_saveexec_b64 s[2:3], vcc
	s_xor_b64 s[2:3], exec, s[2:3]
; %bb.522:
	v_bfe_u32 v54, v57, 16, 1
	s_movk_i32 s4, 0x7fff
	v_add3_u32 v54, v57, v54, s4
                                        ; implicit-def: $vgpr57
; %bb.523:
	s_andn2_saveexec_b64 s[2:3], s[2:3]
; %bb.524:
	v_mov_b32_e32 v54, 0
	v_or_b32_e32 v58, 0x10000, v57
	v_cmp_eq_u32_sdwa vcc, v57, v54 src0_sel:WORD_0 src1_sel:DWORD
	v_cndmask_b32_e32 v54, v58, v57, vcc
; %bb.525:
	s_or_b64 exec, exec, s[2:3]
	v_and_b32_e32 v55, 0xffff0000, v55
	v_fma_f32 v57, v55, v44, v42
	s_mov_b32 s2, 0x7f800000
	v_and_b32_e32 v55, 0x7f800000, v57
	v_cmp_ne_u32_e32 vcc, s2, v55
                                        ; implicit-def: $vgpr55
	s_and_saveexec_b64 s[2:3], vcc
	s_xor_b64 s[2:3], exec, s[2:3]
; %bb.526:
	v_bfe_u32 v55, v57, 16, 1
	s_movk_i32 s4, 0x7fff
	v_add3_u32 v55, v57, v55, s4
                                        ; implicit-def: $vgpr57
; %bb.527:
	s_andn2_saveexec_b64 s[2:3], s[2:3]
; %bb.528:
	v_mov_b32_e32 v55, 0
	v_or_b32_e32 v58, 0x10000, v57
	v_cmp_eq_u32_sdwa vcc, v57, v55 src0_sel:WORD_0 src1_sel:DWORD
	v_cndmask_b32_e32 v55, v58, v57, vcc
; %bb.529:
	s_or_b64 exec, exec, s[2:3]
	v_and_b32_e32 v56, 0xffff0000, v56
	v_fmac_f32_e32 v42, v56, v44
	s_mov_b32 s2, 0x7f800000
	v_and_b32_e32 v44, 0x7f800000, v42
	v_cmp_ne_u32_e32 vcc, s2, v44
                                        ; implicit-def: $vgpr44
	s_and_saveexec_b64 s[2:3], vcc
	s_xor_b64 s[2:3], exec, s[2:3]
; %bb.530:
	v_bfe_u32 v44, v42, 16, 1
	s_movk_i32 s4, 0x7fff
	v_add3_u32 v44, v42, v44, s4
                                        ; implicit-def: $vgpr42
; %bb.531:
	s_andn2_saveexec_b64 s[2:3], s[2:3]
; %bb.532:
	v_mov_b32_e32 v44, 0
	v_or_b32_e32 v56, 0x10000, v42
	v_cmp_eq_u32_sdwa vcc, v42, v44 src0_sel:WORD_0 src1_sel:DWORD
	v_cndmask_b32_e32 v44, v56, v42, vcc
; %bb.533:
	s_or_b64 exec, exec, s[2:3]
	s_mov_b32 s2, 0x3020706
	v_perm_b32 v25, v25, v29, s2
	v_perm_b32 v24, v4, v24, s2
	;; [unrolled: 1-line block ×3, first 2 shown]
	s_nop 0
	v_mfma_f32_16x16x16bf16_1k v[56:59], v[14:15], v[24:25], 0
	v_perm_b32 v15, v32, v33, s2
	v_perm_b32 v14, v30, v31, s2
	;; [unrolled: 1-line block ×5, first 2 shown]
	s_nop 5
	v_pk_add_f32 v[2:3], v[2:3], v[58:59]
	v_mfma_f32_16x16x16bf16_1k v[12:15], v[12:13], v[14:15], 0
	v_pk_add_f32 v[0:1], v[0:1], v[56:57]
	v_mfma_f32_16x16x16bf16_1k v[30:33], v[8:9], v[24:25], 0
	s_nop 7
	s_nop 0
	v_pk_add_f32 v[2:3], v[2:3], v[14:15]
	v_perm_b32 v9, v51, v52, s2
	v_perm_b32 v8, v7, v50, s2
	v_pk_add_f32 v[0:1], v[0:1], v[12:13]
	v_mfma_f32_16x16x16bf16_1k v[36:39], v[18:19], v[4:5], 0
	v_perm_b32 v5, v43, v45, s2
	v_perm_b32 v4, v6, v34, s2
	v_pk_add_f32 v[2:3], v[2:3], v[32:33]
	v_pk_add_f32 v[12:13], v[0:1], v[30:31]
	v_perm_b32 v19, v55, v44, s2
	v_perm_b32 v18, v53, v54, s2
	s_nop 4
	v_pk_add_f32 v[14:15], v[2:3], v[38:39]
	v_mfma_f32_16x16x16bf16_1k v[22:25], v[22:23], v[4:5], 0
	v_perm_b32 v5, v48, v49, s2
	v_perm_b32 v4, v46, v47, s2
	s_nop 1
	v_mfma_f32_16x16x16bf16_1k v[4:7], v[20:21], v[4:5], 0
	v_mfma_f32_16x16x16bf16_1k v[0:3], v[10:11], v[8:9], 0
	v_pk_add_f32 v[8:9], v[12:13], v[36:37]
	s_nop 3
	v_pk_add_f32 v[10:11], v[14:15], v[24:25]
	v_pk_add_f32 v[8:9], v[8:9], v[22:23]
	s_nop 2
	v_pk_add_f32 v[6:7], v[10:11], v[6:7]
	v_pk_add_f32 v[4:5], v[8:9], v[4:5]
	;; [unrolled: 1-line block ×4, first 2 shown]
	v_mfma_f32_16x16x16bf16_1k v[0:3], v[16:17], v[18:19], 0
	s_nop 7
	s_nop 2
	v_pk_add_f32 v[2:3], v[6:7], v[2:3]
	v_pk_add_f32 v[0:1], v[4:5], v[0:1]
.LBB5_534:
	s_or_b64 exec, exec, s[0:1]
	v_lshlrev_b32_e32 v29, 4, v26
	v_lshl_add_u32 v4, v28, 10, v29
	v_cmp_eq_u32_e32 vcc, 0, v28
	ds_write_b128 v4, v[0:3]
	s_waitcnt lgkmcnt(0)
	s_barrier
	s_and_saveexec_b64 s[0:1], vcc
	s_cbranch_execz .LBB5_559
; %bb.535:
	v_add_u32_e32 v0, 12, v29
	v_add_u32_e32 v1, 0x404, v29
	;; [unrolled: 1-line block ×4, first 2 shown]
	ds_read2st64_b32 v[2:3], v0 offset1:4
	ds_read2st64_b32 v[4:5], v0 offset0:8 offset1:12
	ds_read2_b32 v[10:11], v29 offset0:1 offset1:2
	ds_read2_b32 v[12:13], v1 offset1:1
	ds_read2_b32 v[14:15], v6 offset1:1
	;; [unrolled: 1-line block ×3, first 2 shown]
	v_add_u32_e32 v1, 0x1004, v29
	ds_read2st64_b32 v[6:7], v0 offset0:16 offset1:20
	v_add_u32_e32 v20, 0x1404, v29
	v_add_u32_e32 v22, 0x1804, v29
	ds_read2st64_b32 v[8:9], v0 offset0:24 offset1:28
	v_add_u32_e32 v0, 0x1c04, v29
	ds_read2_b32 v[18:19], v1 offset1:1
	ds_read2_b32 v[20:21], v20 offset1:1
	;; [unrolled: 1-line block ×4, first 2 shown]
	v_and_b32_e32 v0, 0xfc, v27
	v_lshl_add_u32 v27, s8, 4, v0
	v_mul_lo_u32 v30, v27, s17
	v_ashrrev_i32_e32 v31, 31, v30
	s_lshl_b32 s0, s7, 4
	v_lshlrev_b64 v[30:31], 1, v[30:31]
	v_and_or_b32 v0, v26, 15, s0
	v_mov_b32_e32 v1, s15
	v_add_co_u32_e32 v26, vcc, s14, v30
	v_addc_co_u32_e32 v28, vcc, v1, v31, vcc
	v_ashrrev_i32_e32 v1, 31, v0
	v_lshlrev_b64 v[0:1], 1, v[0:1]
	v_add_co_u32_e32 v0, vcc, v26, v0
	v_addc_co_u32_e32 v1, vcc, v28, v1, vcc
	v_cmp_gt_i32_e32 vcc, s16, v27
	s_and_saveexec_b64 s[0:1], vcc
	s_cbranch_execz .LBB5_541
; %bb.536:
	ds_read2st64_b32 v[30:31], v29 offset1:4
	ds_read2st64_b32 v[32:33], v29 offset0:8 offset1:12
	ds_read2st64_b32 v[34:35], v29 offset0:16 offset1:20
	;; [unrolled: 1-line block ×3, first 2 shown]
	s_mov_b32 s2, 0x7f800000
	s_waitcnt lgkmcnt(3)
	v_add_f32_e32 v26, 0, v30
	v_add_f32_e32 v26, v26, v31
	s_waitcnt lgkmcnt(2)
	v_add_f32_e32 v26, v26, v32
	v_add_f32_e32 v26, v26, v33
	s_waitcnt lgkmcnt(1)
	v_add_f32_e32 v26, v26, v34
	v_add_f32_e32 v26, v26, v35
	s_waitcnt lgkmcnt(0)
	v_add_f32_e32 v26, v26, v28
	v_add_f32_e32 v26, v26, v29
	v_and_b32_e32 v28, 0x7f800000, v26
	v_cmp_ne_u32_e32 vcc, s2, v28
                                        ; implicit-def: $vgpr28
	s_and_saveexec_b64 s[2:3], vcc
	s_xor_b64 s[2:3], exec, s[2:3]
; %bb.537:
	v_bfe_u32 v28, v26, 16, 1
	s_movk_i32 s4, 0x7fff
	v_add3_u32 v28, v26, v28, s4
                                        ; implicit-def: $vgpr26
; %bb.538:
	s_andn2_saveexec_b64 s[2:3], s[2:3]
; %bb.539:
	v_mov_b32_e32 v28, 0
	v_or_b32_e32 v29, 0x10000, v26
	v_cmp_eq_u32_sdwa vcc, v26, v28 src0_sel:WORD_0 src1_sel:DWORD
	v_cndmask_b32_e32 v28, v29, v26, vcc
; %bb.540:
	s_or_b64 exec, exec, s[2:3]
	global_store_short_d16_hi v[0:1], v28, off
.LBB5_541:
	s_or_b64 exec, exec, s[0:1]
	v_or_b32_e32 v26, 1, v27
	v_cmp_gt_i32_e32 vcc, s16, v26
	s_and_saveexec_b64 s[0:1], vcc
	s_cbranch_execz .LBB5_547
; %bb.542:
	s_waitcnt lgkmcnt(9)
	v_add_f32_e32 v10, 0, v10
	s_waitcnt lgkmcnt(8)
	v_add_f32_e32 v10, v10, v12
	;; [unrolled: 2-line block ×8, first 2 shown]
	s_mov_b32 s2, 0x7f800000
	v_and_b32_e32 v10, 0x7f800000, v12
	v_cmp_ne_u32_e32 vcc, s2, v10
                                        ; implicit-def: $vgpr10
	s_and_saveexec_b64 s[2:3], vcc
	s_xor_b64 s[2:3], exec, s[2:3]
; %bb.543:
	v_bfe_u32 v10, v12, 16, 1
	s_movk_i32 s4, 0x7fff
	v_add3_u32 v10, v12, v10, s4
                                        ; implicit-def: $vgpr12
; %bb.544:
	s_andn2_saveexec_b64 s[2:3], s[2:3]
; %bb.545:
	v_mov_b32_e32 v10, 0
	v_or_b32_e32 v14, 0x10000, v12
	v_cmp_eq_u32_sdwa vcc, v12, v10 src0_sel:WORD_0 src1_sel:DWORD
	v_cndmask_b32_e32 v10, v14, v12, vcc
; %bb.546:
	s_or_b64 exec, exec, s[2:3]
	s_ashr_i32 s3, s17, 31
	s_mov_b32 s2, s17
	s_lshl_b64 s[2:3], s[2:3], 1
	v_mov_b32_e32 v12, s3
	v_add_co_u32_e32 v28, vcc, s2, v0
	v_addc_co_u32_e32 v29, vcc, v1, v12, vcc
	global_store_short_d16_hi v[28:29], v10, off
.LBB5_547:
	s_or_b64 exec, exec, s[0:1]
	s_waitcnt lgkmcnt(9)
	v_or_b32_e32 v10, 2, v27
	v_cmp_gt_i32_e32 vcc, s16, v10
	s_and_saveexec_b64 s[0:1], vcc
	s_cbranch_execz .LBB5_553
; %bb.548:
	v_add_f32_e32 v10, 0, v11
	s_waitcnt lgkmcnt(8)
	v_add_f32_e32 v10, v10, v13
	s_waitcnt lgkmcnt(7)
	;; [unrolled: 2-line block ×7, first 2 shown]
	v_add_f32_e32 v11, v10, v25
	s_mov_b32 s2, 0x7f800000
	v_and_b32_e32 v10, 0x7f800000, v11
	v_cmp_ne_u32_e32 vcc, s2, v10
                                        ; implicit-def: $vgpr10
	s_and_saveexec_b64 s[2:3], vcc
	s_xor_b64 s[2:3], exec, s[2:3]
; %bb.549:
	v_bfe_u32 v10, v11, 16, 1
	s_movk_i32 s4, 0x7fff
	v_add3_u32 v10, v11, v10, s4
                                        ; implicit-def: $vgpr11
; %bb.550:
	s_andn2_saveexec_b64 s[2:3], s[2:3]
; %bb.551:
	v_mov_b32_e32 v10, 0
	v_or_b32_e32 v12, 0x10000, v11
	v_cmp_eq_u32_sdwa vcc, v11, v10 src0_sel:WORD_0 src1_sel:DWORD
	v_cndmask_b32_e32 v10, v12, v11, vcc
; %bb.552:
	s_or_b64 exec, exec, s[2:3]
	s_lshl_b32 s2, s17, 1
	s_ashr_i32 s3, s2, 31
	s_lshl_b64 s[2:3], s[2:3], 1
	v_mov_b32_e32 v11, s3
	v_add_co_u32_e32 v12, vcc, s2, v0
	v_addc_co_u32_e32 v13, vcc, v1, v11, vcc
	global_store_short_d16_hi v[12:13], v10, off
.LBB5_553:
	s_or_b64 exec, exec, s[0:1]
	v_or_b32_e32 v10, 3, v27
	v_cmp_gt_i32_e32 vcc, s16, v10
	s_and_b64 exec, exec, vcc
	s_cbranch_execz .LBB5_559
; %bb.554:
	v_add_f32_e32 v2, 0, v2
	v_add_f32_e32 v2, v2, v3
	;; [unrolled: 1-line block ×4, first 2 shown]
	s_waitcnt lgkmcnt(5)
	v_add_f32_e32 v2, v2, v6
	v_add_f32_e32 v2, v2, v7
	s_waitcnt lgkmcnt(4)
	v_add_f32_e32 v2, v2, v8
	v_add_f32_e32 v3, v2, v9
	s_mov_b32 s0, 0x7f800000
	v_and_b32_e32 v2, 0x7f800000, v3
	v_cmp_ne_u32_e32 vcc, s0, v2
                                        ; implicit-def: $vgpr2
	s_and_saveexec_b64 s[0:1], vcc
	s_xor_b64 s[0:1], exec, s[0:1]
; %bb.555:
	v_bfe_u32 v2, v3, 16, 1
	s_movk_i32 s2, 0x7fff
	v_add3_u32 v2, v3, v2, s2
                                        ; implicit-def: $vgpr3
; %bb.556:
	s_andn2_saveexec_b64 s[0:1], s[0:1]
; %bb.557:
	v_mov_b32_e32 v2, 0
	v_or_b32_e32 v4, 0x10000, v3
	v_cmp_eq_u32_sdwa vcc, v3, v2 src0_sel:WORD_0 src1_sel:DWORD
	v_cndmask_b32_e32 v2, v4, v3, vcc
; %bb.558:
	s_or_b64 exec, exec, s[0:1]
	s_mul_i32 s0, s17, 3
	s_ashr_i32 s1, s0, 31
	s_lshl_b64 s[0:1], s[0:1], 1
	v_mov_b32_e32 v3, s1
	v_add_co_u32_e32 v0, vcc, s0, v0
	v_addc_co_u32_e32 v1, vcc, v1, v3, vcc
	global_store_short_d16_hi v[0:1], v2, off
.LBB5_559:
	s_endpgm
	.section	.rodata,"a",@progbits
	.p2align	6, 0x0
	.amdhsa_kernel _ZN2at6native30tinygemm_m16n8k16_chunk_kernelINS0_10ALayout_RMILNS0_14KReductionTypeE0EEENS0_15BLayout_TC_int4ILi8ELi64EEES4_Li8ELi8EEEvPKvS8_S8_Pviiiiii
		.amdhsa_group_segment_fixed_size 8192
		.amdhsa_private_segment_fixed_size 0
		.amdhsa_kernarg_size 56
		.amdhsa_user_sgpr_count 6
		.amdhsa_user_sgpr_private_segment_buffer 1
		.amdhsa_user_sgpr_dispatch_ptr 0
		.amdhsa_user_sgpr_queue_ptr 0
		.amdhsa_user_sgpr_kernarg_segment_ptr 1
		.amdhsa_user_sgpr_dispatch_id 0
		.amdhsa_user_sgpr_flat_scratch_init 0
		.amdhsa_user_sgpr_kernarg_preload_length 0
		.amdhsa_user_sgpr_kernarg_preload_offset 0
		.amdhsa_user_sgpr_private_segment_size 0
		.amdhsa_uses_dynamic_stack 0
		.amdhsa_system_sgpr_private_segment_wavefront_offset 0
		.amdhsa_system_sgpr_workgroup_id_x 1
		.amdhsa_system_sgpr_workgroup_id_y 1
		.amdhsa_system_sgpr_workgroup_id_z 1
		.amdhsa_system_sgpr_workgroup_info 0
		.amdhsa_system_vgpr_workitem_id 1
		.amdhsa_next_free_vgpr 72
		.amdhsa_next_free_sgpr 31
		.amdhsa_accum_offset 72
		.amdhsa_reserve_vcc 1
		.amdhsa_reserve_flat_scratch 0
		.amdhsa_float_round_mode_32 0
		.amdhsa_float_round_mode_16_64 0
		.amdhsa_float_denorm_mode_32 3
		.amdhsa_float_denorm_mode_16_64 3
		.amdhsa_dx10_clamp 1
		.amdhsa_ieee_mode 1
		.amdhsa_fp16_overflow 0
		.amdhsa_tg_split 0
		.amdhsa_exception_fp_ieee_invalid_op 0
		.amdhsa_exception_fp_denorm_src 0
		.amdhsa_exception_fp_ieee_div_zero 0
		.amdhsa_exception_fp_ieee_overflow 0
		.amdhsa_exception_fp_ieee_underflow 0
		.amdhsa_exception_fp_ieee_inexact 0
		.amdhsa_exception_int_div_zero 0
	.end_amdhsa_kernel
	.section	.text._ZN2at6native30tinygemm_m16n8k16_chunk_kernelINS0_10ALayout_RMILNS0_14KReductionTypeE0EEENS0_15BLayout_TC_int4ILi8ELi64EEES4_Li8ELi8EEEvPKvS8_S8_Pviiiiii,"axG",@progbits,_ZN2at6native30tinygemm_m16n8k16_chunk_kernelINS0_10ALayout_RMILNS0_14KReductionTypeE0EEENS0_15BLayout_TC_int4ILi8ELi64EEES4_Li8ELi8EEEvPKvS8_S8_Pviiiiii,comdat
.Lfunc_end5:
	.size	_ZN2at6native30tinygemm_m16n8k16_chunk_kernelINS0_10ALayout_RMILNS0_14KReductionTypeE0EEENS0_15BLayout_TC_int4ILi8ELi64EEES4_Li8ELi8EEEvPKvS8_S8_Pviiiiii, .Lfunc_end5-_ZN2at6native30tinygemm_m16n8k16_chunk_kernelINS0_10ALayout_RMILNS0_14KReductionTypeE0EEENS0_15BLayout_TC_int4ILi8ELi64EEES4_Li8ELi8EEEvPKvS8_S8_Pviiiiii
                                        ; -- End function
	.section	.AMDGPU.csdata,"",@progbits
; Kernel info:
; codeLenInByte = 14972
; NumSgprs: 35
; NumVgprs: 72
; NumAgprs: 0
; TotalNumVgprs: 72
; ScratchSize: 0
; MemoryBound: 0
; FloatMode: 240
; IeeeMode: 1
; LDSByteSize: 8192 bytes/workgroup (compile time only)
; SGPRBlocks: 4
; VGPRBlocks: 8
; NumSGPRsForWavesPerEU: 35
; NumVGPRsForWavesPerEU: 72
; AccumOffset: 72
; Occupancy: 7
; WaveLimiterHint : 0
; COMPUTE_PGM_RSRC2:SCRATCH_EN: 0
; COMPUTE_PGM_RSRC2:USER_SGPR: 6
; COMPUTE_PGM_RSRC2:TRAP_HANDLER: 0
; COMPUTE_PGM_RSRC2:TGID_X_EN: 1
; COMPUTE_PGM_RSRC2:TGID_Y_EN: 1
; COMPUTE_PGM_RSRC2:TGID_Z_EN: 1
; COMPUTE_PGM_RSRC2:TIDIG_COMP_CNT: 1
; COMPUTE_PGM_RSRC3_GFX90A:ACCUM_OFFSET: 17
; COMPUTE_PGM_RSRC3_GFX90A:TG_SPLIT: 0
	.section	.text._ZN2at6native30tinygemm_m16n8k16_chunk_kernelINS0_10ALayout_RMILNS0_14KReductionTypeE0EEENS0_15BLayout_TC_int4ILi2ELi128EEES4_Li8ELi8EEEvPKvS8_S8_Pviiiiii,"axG",@progbits,_ZN2at6native30tinygemm_m16n8k16_chunk_kernelINS0_10ALayout_RMILNS0_14KReductionTypeE0EEENS0_15BLayout_TC_int4ILi2ELi128EEES4_Li8ELi8EEEvPKvS8_S8_Pviiiiii,comdat
	.protected	_ZN2at6native30tinygemm_m16n8k16_chunk_kernelINS0_10ALayout_RMILNS0_14KReductionTypeE0EEENS0_15BLayout_TC_int4ILi2ELi128EEES4_Li8ELi8EEEvPKvS8_S8_Pviiiiii ; -- Begin function _ZN2at6native30tinygemm_m16n8k16_chunk_kernelINS0_10ALayout_RMILNS0_14KReductionTypeE0EEENS0_15BLayout_TC_int4ILi2ELi128EEES4_Li8ELi8EEEvPKvS8_S8_Pviiiiii
	.globl	_ZN2at6native30tinygemm_m16n8k16_chunk_kernelINS0_10ALayout_RMILNS0_14KReductionTypeE0EEENS0_15BLayout_TC_int4ILi2ELi128EEES4_Li8ELi8EEEvPKvS8_S8_Pviiiiii
	.p2align	8
	.type	_ZN2at6native30tinygemm_m16n8k16_chunk_kernelINS0_10ALayout_RMILNS0_14KReductionTypeE0EEENS0_15BLayout_TC_int4ILi2ELi128EEES4_Li8ELi8EEEvPKvS8_S8_Pviiiiii,@function
_ZN2at6native30tinygemm_m16n8k16_chunk_kernelINS0_10ALayout_RMILNS0_14KReductionTypeE0EEENS0_15BLayout_TC_int4ILi2ELi128EEES4_Li8ELi8EEEvPKvS8_S8_Pviiiiii: ; @_ZN2at6native30tinygemm_m16n8k16_chunk_kernelINS0_10ALayout_RMILNS0_14KReductionTypeE0EEENS0_15BLayout_TC_int4ILi2ELi128EEES4_Li8ELi8EEEvPKvS8_S8_Pviiiiii
; %bb.0:
	s_load_dwordx2 s[2:3], s[4:5], 0x30
	s_load_dwordx4 s[20:23], s[4:5], 0x0
	s_load_dwordx8 s[12:19], s[4:5], 0x10
	v_bfe_u32 v24, v0, 10, 10
	s_mov_b32 s24, 0
	s_waitcnt lgkmcnt(0)
	s_ashr_i32 s0, s3, 31
	s_lshr_b32 s0, s0, 29
	v_and_b32_e32 v26, 0x3ff, v0
	s_add_i32 s0, s3, s0
	v_lshlrev_b32_e32 v0, 3, v24
	s_mov_b32 s25, s24
	s_and_b32 s9, s0, -8
	v_lshl_add_u32 v28, s6, 6, v0
	s_mov_b32 s26, s24
	s_mov_b32 s27, s24
	v_pk_mov_b32 v[0:1], s[24:25], s[24:25] op_sel:[0,1]
	v_cmp_gt_i32_e32 vcc, s9, v28
	v_pk_mov_b32 v[2:3], s[26:27], s[26:27] op_sel:[0,1]
	v_and_b32_e32 v25, 15, v26
	v_lshrrev_b32_e32 v27, 2, v26
	s_and_saveexec_b64 s[4:5], vcc
	s_cbranch_execz .LBB6_268
; %bb.1:
	v_lshl_or_b32 v2, s8, 4, v25
	v_mul_lo_u32 v0, v2, s18
	v_ashrrev_i32_e32 v1, 31, v0
	v_lshlrev_b64 v[0:1], 1, v[0:1]
	s_lshr_b32 s0, s3, 31
	v_mov_b32_e32 v4, s21
	v_add_co_u32_e32 v29, vcc, s20, v0
	s_add_i32 s0, s3, s0
	v_and_b32_e32 v3, 0xfc, v27
	v_addc_co_u32_e32 v30, vcc, v4, v1, vcc
	s_ashr_i32 s19, s0, 1
	s_lshl_b32 s0, s6, 10
	v_lshlrev_b32_e32 v0, 7, v24
	v_mov_b32_e32 v32, 0
	v_cmp_gt_i32_e32 vcc, s16, v2
	s_mul_i32 s19, s19, s7
	v_lshl_or_b32 v31, s7, 4, v25
	s_lshl_b32 s26, s2, 4
	v_add3_u32 v4, s0, v0, v3
	s_mov_b64 s[10:11], 0
	v_mov_b32_e32 v33, 0xf000f
	v_mov_b32_e32 v34, 0x43004300
	s_mov_b32 s6, 0x7f800000
	s_movk_i32 s27, 0x7fff
	s_mov_b32 s28, 0x3020706
	v_mov_b32_e32 v0, 0
	v_mov_b32_e32 v1, v32
	;; [unrolled: 1-line block ×4, first 2 shown]
	s_branch .LBB6_3
.LBB6_2:                                ;   in Loop: Header=BB6_3 Depth=1
	s_or_b64 exec, exec, s[24:25]
	v_perm_b32 v37, v36, v37, s28
	v_perm_b32 v36, v5, v23, s28
	;; [unrolled: 1-line block ×4, first 2 shown]
	v_mfma_f32_16x16x16bf16_1k v[66:69], v[8:9], v[36:37], 0
	v_perm_b32 v9, v40, v41, s28
	v_perm_b32 v8, v38, v39, s28
	;; [unrolled: 1-line block ×6, first 2 shown]
	v_add_u32_e32 v28, 64, v28
	v_mfma_f32_16x16x16bf16_1k v[6:9], v[6:7], v[8:9], 0
	s_nop 2
	v_pk_add_f32 v[2:3], v[2:3], v[68:69]
	v_pk_add_f32 v[0:1], v[0:1], v[66:67]
	v_cmp_le_i32_e64 s[0:1], s9, v28
	s_or_b64 s[10:11], s[0:1], s[10:11]
	v_add_u32_e32 v4, 0x400, v4
	s_nop 2
	v_pk_add_f32 v[2:3], v[2:3], v[8:9]
	v_mfma_f32_16x16x16bf16_1k v[36:39], v[16:17], v[22:23], 0
	v_perm_b32 v17, v49, v50, s28
	v_perm_b32 v16, v47, v48, s28
	;; [unrolled: 1-line block ×4, first 2 shown]
	v_pk_add_f32 v[0:1], v[0:1], v[6:7]
	s_nop 5
	v_pk_add_f32 v[2:3], v[2:3], v[38:39]
	v_mfma_f32_16x16x16bf16_1k v[14:17], v[14:15], v[16:17], 0
	v_pk_add_f32 v[6:7], v[0:1], v[36:37]
	v_mfma_f32_16x16x16bf16_1k v[44:47], v[10:11], v[22:23], 0
	v_perm_b32 v11, v57, v58, s28
	v_perm_b32 v10, v55, v56, s28
	s_nop 6
	v_pk_add_f32 v[8:9], v[2:3], v[16:17]
	v_pk_add_f32 v[6:7], v[6:7], v[14:15]
	v_mfma_f32_16x16x16bf16_1k v[20:23], v[20:21], v[10:11], 0
	v_pk_add_f32 v[8:9], v[8:9], v[46:47]
	v_pk_add_f32 v[6:7], v[6:7], v[44:45]
	v_mfma_f32_16x16x16bf16_1k v[0:3], v[18:19], v[40:41], 0
	s_nop 7
	v_pk_add_f32 v[8:9], v[8:9], v[22:23]
	v_pk_add_f32 v[6:7], v[6:7], v[20:21]
	s_nop 0
	v_pk_add_f32 v[8:9], v[8:9], v[2:3]
	v_pk_add_f32 v[6:7], v[6:7], v[0:1]
	v_mfma_f32_16x16x16bf16_1k v[0:3], v[12:13], v[42:43], 0
	s_nop 7
	s_nop 2
	v_pk_add_f32 v[2:3], v[8:9], v[2:3]
	v_pk_add_f32 v[0:1], v[6:7], v[0:1]
	s_andn2_b64 exec, exec, s[10:11]
	s_cbranch_execz .LBB6_267
.LBB6_3:                                ; =>This Inner Loop Header: Depth=1
	v_ashrrev_i32_e32 v5, 31, v4
	v_lshlrev_b64 v[6:7], 1, v[4:5]
	v_add_co_u32_e64 v22, s[0:1], v29, v6
	v_addc_co_u32_e64 v23, s[0:1], v30, v7, s[0:1]
	v_mov_b32_e32 v8, 0
	v_mov_b32_e32 v9, 0
	v_mov_b32_e32 v6, 0
	v_mov_b32_e32 v7, 0
	s_and_saveexec_b64 s[0:1], vcc
	s_cbranch_execz .LBB6_5
; %bb.4:                                ;   in Loop: Header=BB6_3 Depth=1
	global_load_dwordx2 v[8:9], v[22:23], off
	global_load_dwordx2 v[6:7], v[22:23], off offset:32
.LBB6_5:                                ;   in Loop: Header=BB6_3 Depth=1
	s_or_b64 exec, exec, s[0:1]
	v_mov_b32_e32 v10, 0
	v_mov_b32_e32 v16, 0
	;; [unrolled: 1-line block ×5, first 2 shown]
	s_and_saveexec_b64 s[0:1], vcc
	s_cbranch_execz .LBB6_7
; %bb.6:                                ;   in Loop: Header=BB6_3 Depth=1
	global_load_dwordx2 v[16:17], v[22:23], off offset:64
	global_load_dwordx2 v[14:15], v[22:23], off offset:96
.LBB6_7:                                ;   in Loop: Header=BB6_3 Depth=1
	s_or_b64 exec, exec, s[0:1]
	v_mov_b32_e32 v11, 0
	v_mov_b32_e32 v20, 0
	v_mov_b32_e32 v21, 0
	s_and_saveexec_b64 s[0:1], vcc
	s_cbranch_execz .LBB6_9
; %bb.8:                                ;   in Loop: Header=BB6_3 Depth=1
	global_load_dwordx2 v[10:11], v[22:23], off offset:128
	global_load_dwordx2 v[20:21], v[22:23], off offset:160
.LBB6_9:                                ;   in Loop: Header=BB6_3 Depth=1
	s_or_b64 exec, exec, s[0:1]
	v_mov_b32_e32 v18, 0
	v_mov_b32_e32 v19, 0
	;; [unrolled: 1-line block ×4, first 2 shown]
	s_and_saveexec_b64 s[0:1], vcc
	s_cbranch_execz .LBB6_11
; %bb.10:                               ;   in Loop: Header=BB6_3 Depth=1
	global_load_dwordx2 v[18:19], v[22:23], off offset:192
	global_load_dwordx2 v[12:13], v[22:23], off offset:224
.LBB6_11:                               ;   in Loop: Header=BB6_3 Depth=1
	s_or_b64 exec, exec, s[0:1]
	v_lshrrev_b32_e32 v5, 1, v28
	v_add_u32_e32 v5, s19, v5
	v_lshl_add_u32 v22, v5, 6, v26
	v_ashrrev_i32_e32 v23, 31, v22
	v_lshlrev_b64 v[22:23], 2, v[22:23]
	v_mov_b32_e32 v5, s23
	v_add_co_u32_e64 v22, s[0:1], s22, v22
	v_addc_co_u32_e64 v23, s[0:1], v5, v23, s[0:1]
	v_ashrrev_i32_e32 v5, 3, v28
	v_mul_lo_u32 v5, s26, v5
	global_load_dword v35, v[22:23], off
	global_load_dword v43, v[22:23], off offset:256
	global_load_dword v51, v[22:23], off offset:512
	;; [unrolled: 1-line block ×3, first 2 shown]
	v_add_lshl_u32 v22, v31, v5, 1
	v_ashrrev_i32_e32 v23, 31, v22
	v_lshlrev_b64 v[22:23], 1, v[22:23]
	v_mov_b32_e32 v5, s13
	v_add_co_u32_e64 v22, s[0:1], s12, v22
	v_addc_co_u32_e64 v23, s[0:1], v5, v23, s[0:1]
	global_load_dword v5, v[22:23], off
	s_waitcnt vmcnt(4)
	;;#ASMSTART
	v_and_or_b32 v23, v35, v33, v34
	;;#ASMEND
	v_lshrrev_b32_e32 v22, 4, v35
	v_lshrrev_b32_e32 v36, 8, v35
	;;#ASMSTART
	v_and_or_b32 v37, v22, v33, v34
	;;#ASMEND
	v_lshlrev_b32_e32 v22, 16, v23
	;;#ASMSTART
	v_and_or_b32 v39, v36, v33, v34
	;;#ASMEND
	v_add_f32_e32 v36, 0xc3080000, v22
	v_and_b32_e32 v22, 0x7f800000, v36
	v_lshrrev_b32_e32 v35, 12, v35
	v_cmp_ne_u32_e64 s[0:1], s6, v22
	;;#ASMSTART
	v_and_or_b32 v35, v35, v33, v34
	;;#ASMEND
                                        ; implicit-def: $vgpr22
	s_and_saveexec_b64 s[24:25], s[0:1]
	s_xor_b64 s[0:1], exec, s[24:25]
; %bb.12:                               ;   in Loop: Header=BB6_3 Depth=1
	v_bfe_u32 v22, v36, 16, 1
	v_add3_u32 v22, v36, v22, s27
                                        ; implicit-def: $vgpr36
; %bb.13:                               ;   in Loop: Header=BB6_3 Depth=1
	s_andn2_saveexec_b64 s[24:25], s[0:1]
; %bb.14:                               ;   in Loop: Header=BB6_3 Depth=1
	v_or_b32_e32 v22, 0x10000, v36
	v_cmp_eq_u32_sdwa s[0:1], v36, v32 src0_sel:WORD_0 src1_sel:DWORD
	v_cndmask_b32_e64 v22, v22, v36, s[0:1]
; %bb.15:                               ;   in Loop: Header=BB6_3 Depth=1
	s_or_b64 exec, exec, s[24:25]
	v_and_b32_e32 v23, 0xffff0000, v23
	v_add_f32_e32 v36, 0xc3080000, v23
	v_and_b32_e32 v23, 0x7f800000, v36
	v_cmp_ne_u32_e64 s[0:1], s6, v23
                                        ; implicit-def: $vgpr23
	s_and_saveexec_b64 s[24:25], s[0:1]
	s_xor_b64 s[0:1], exec, s[24:25]
; %bb.16:                               ;   in Loop: Header=BB6_3 Depth=1
	v_bfe_u32 v23, v36, 16, 1
	v_add3_u32 v23, v36, v23, s27
                                        ; implicit-def: $vgpr36
; %bb.17:                               ;   in Loop: Header=BB6_3 Depth=1
	s_andn2_saveexec_b64 s[24:25], s[0:1]
; %bb.18:                               ;   in Loop: Header=BB6_3 Depth=1
	v_or_b32_e32 v23, 0x10000, v36
	v_cmp_eq_u32_sdwa s[0:1], v36, v32 src0_sel:WORD_0 src1_sel:DWORD
	v_cndmask_b32_e64 v23, v23, v36, s[0:1]
; %bb.19:                               ;   in Loop: Header=BB6_3 Depth=1
	s_or_b64 exec, exec, s[24:25]
	v_lshlrev_b32_e32 v36, 16, v37
	v_add_f32_e32 v38, 0xc3080000, v36
	v_and_b32_e32 v36, 0x7f800000, v38
	v_cmp_ne_u32_e64 s[0:1], s6, v36
                                        ; implicit-def: $vgpr36
	s_and_saveexec_b64 s[24:25], s[0:1]
	s_xor_b64 s[0:1], exec, s[24:25]
; %bb.20:                               ;   in Loop: Header=BB6_3 Depth=1
	v_bfe_u32 v36, v38, 16, 1
	v_add3_u32 v36, v38, v36, s27
                                        ; implicit-def: $vgpr38
; %bb.21:                               ;   in Loop: Header=BB6_3 Depth=1
	s_andn2_saveexec_b64 s[24:25], s[0:1]
; %bb.22:                               ;   in Loop: Header=BB6_3 Depth=1
	v_or_b32_e32 v36, 0x10000, v38
	v_cmp_eq_u32_sdwa s[0:1], v38, v32 src0_sel:WORD_0 src1_sel:DWORD
	v_cndmask_b32_e64 v36, v36, v38, s[0:1]
; %bb.23:                               ;   in Loop: Header=BB6_3 Depth=1
	s_or_b64 exec, exec, s[24:25]
	v_and_b32_e32 v37, 0xffff0000, v37
	v_add_f32_e32 v38, 0xc3080000, v37
	v_and_b32_e32 v37, 0x7f800000, v38
	v_cmp_ne_u32_e64 s[0:1], s6, v37
                                        ; implicit-def: $vgpr37
	s_and_saveexec_b64 s[24:25], s[0:1]
	s_xor_b64 s[0:1], exec, s[24:25]
; %bb.24:                               ;   in Loop: Header=BB6_3 Depth=1
	v_bfe_u32 v37, v38, 16, 1
	v_add3_u32 v37, v38, v37, s27
                                        ; implicit-def: $vgpr38
; %bb.25:                               ;   in Loop: Header=BB6_3 Depth=1
	s_andn2_saveexec_b64 s[24:25], s[0:1]
; %bb.26:                               ;   in Loop: Header=BB6_3 Depth=1
	v_or_b32_e32 v37, 0x10000, v38
	v_cmp_eq_u32_sdwa s[0:1], v38, v32 src0_sel:WORD_0 src1_sel:DWORD
	v_cndmask_b32_e64 v37, v37, v38, s[0:1]
; %bb.27:                               ;   in Loop: Header=BB6_3 Depth=1
	s_or_b64 exec, exec, s[24:25]
	v_lshlrev_b32_e32 v38, 16, v39
	v_add_f32_e32 v40, 0xc3080000, v38
	v_and_b32_e32 v38, 0x7f800000, v40
	v_cmp_ne_u32_e64 s[0:1], s6, v38
                                        ; implicit-def: $vgpr38
	s_and_saveexec_b64 s[24:25], s[0:1]
	s_xor_b64 s[0:1], exec, s[24:25]
; %bb.28:                               ;   in Loop: Header=BB6_3 Depth=1
	v_bfe_u32 v38, v40, 16, 1
	v_add3_u32 v38, v40, v38, s27
                                        ; implicit-def: $vgpr40
; %bb.29:                               ;   in Loop: Header=BB6_3 Depth=1
	s_andn2_saveexec_b64 s[24:25], s[0:1]
; %bb.30:                               ;   in Loop: Header=BB6_3 Depth=1
	v_or_b32_e32 v38, 0x10000, v40
	v_cmp_eq_u32_sdwa s[0:1], v40, v32 src0_sel:WORD_0 src1_sel:DWORD
	v_cndmask_b32_e64 v38, v38, v40, s[0:1]
; %bb.31:                               ;   in Loop: Header=BB6_3 Depth=1
	s_or_b64 exec, exec, s[24:25]
	v_and_b32_e32 v39, 0xffff0000, v39
	v_add_f32_e32 v40, 0xc3080000, v39
	v_and_b32_e32 v39, 0x7f800000, v40
	v_cmp_ne_u32_e64 s[0:1], s6, v39
                                        ; implicit-def: $vgpr39
	s_and_saveexec_b64 s[24:25], s[0:1]
	s_xor_b64 s[0:1], exec, s[24:25]
; %bb.32:                               ;   in Loop: Header=BB6_3 Depth=1
	v_bfe_u32 v39, v40, 16, 1
	v_add3_u32 v39, v40, v39, s27
                                        ; implicit-def: $vgpr40
; %bb.33:                               ;   in Loop: Header=BB6_3 Depth=1
	s_andn2_saveexec_b64 s[24:25], s[0:1]
; %bb.34:                               ;   in Loop: Header=BB6_3 Depth=1
	v_or_b32_e32 v39, 0x10000, v40
	v_cmp_eq_u32_sdwa s[0:1], v40, v32 src0_sel:WORD_0 src1_sel:DWORD
	v_cndmask_b32_e64 v39, v39, v40, s[0:1]
; %bb.35:                               ;   in Loop: Header=BB6_3 Depth=1
	s_or_b64 exec, exec, s[24:25]
	v_lshlrev_b32_e32 v40, 16, v35
	v_add_f32_e32 v41, 0xc3080000, v40
	v_and_b32_e32 v40, 0x7f800000, v41
	v_cmp_ne_u32_e64 s[0:1], s6, v40
                                        ; implicit-def: $vgpr40
	s_and_saveexec_b64 s[24:25], s[0:1]
	s_xor_b64 s[0:1], exec, s[24:25]
; %bb.36:                               ;   in Loop: Header=BB6_3 Depth=1
	v_bfe_u32 v40, v41, 16, 1
	v_add3_u32 v40, v41, v40, s27
                                        ; implicit-def: $vgpr41
; %bb.37:                               ;   in Loop: Header=BB6_3 Depth=1
	s_andn2_saveexec_b64 s[24:25], s[0:1]
; %bb.38:                               ;   in Loop: Header=BB6_3 Depth=1
	v_or_b32_e32 v40, 0x10000, v41
	v_cmp_eq_u32_sdwa s[0:1], v41, v32 src0_sel:WORD_0 src1_sel:DWORD
	v_cndmask_b32_e64 v40, v40, v41, s[0:1]
; %bb.39:                               ;   in Loop: Header=BB6_3 Depth=1
	s_or_b64 exec, exec, s[24:25]
	v_and_b32_e32 v35, 0xffff0000, v35
	v_add_f32_e32 v35, 0xc3080000, v35
	v_and_b32_e32 v41, 0x7f800000, v35
	v_cmp_ne_u32_e64 s[0:1], s6, v41
                                        ; implicit-def: $vgpr41
	s_and_saveexec_b64 s[24:25], s[0:1]
	s_xor_b64 s[0:1], exec, s[24:25]
; %bb.40:                               ;   in Loop: Header=BB6_3 Depth=1
	v_bfe_u32 v41, v35, 16, 1
	v_add3_u32 v41, v35, v41, s27
                                        ; implicit-def: $vgpr35
; %bb.41:                               ;   in Loop: Header=BB6_3 Depth=1
	s_andn2_saveexec_b64 s[24:25], s[0:1]
; %bb.42:                               ;   in Loop: Header=BB6_3 Depth=1
	v_or_b32_e32 v41, 0x10000, v35
	v_cmp_eq_u32_sdwa s[0:1], v35, v32 src0_sel:WORD_0 src1_sel:DWORD
	v_cndmask_b32_e64 v41, v41, v35, s[0:1]
; %bb.43:                               ;   in Loop: Header=BB6_3 Depth=1
	s_or_b64 exec, exec, s[24:25]
	v_and_b32_e32 v44, 0xffff0000, v22
	s_waitcnt vmcnt(0)
	v_lshlrev_b32_e32 v35, 16, v5
	v_and_b32_e32 v22, 0xffff0000, v5
	v_fma_f32 v44, v44, v35, v22
	v_and_b32_e32 v5, 0x7f800000, v44
	v_cmp_ne_u32_e64 s[0:1], s6, v5
                                        ; implicit-def: $vgpr5
	s_and_saveexec_b64 s[24:25], s[0:1]
	s_xor_b64 s[0:1], exec, s[24:25]
; %bb.44:                               ;   in Loop: Header=BB6_3 Depth=1
	v_bfe_u32 v5, v44, 16, 1
	v_add3_u32 v5, v44, v5, s27
                                        ; implicit-def: $vgpr44
; %bb.45:                               ;   in Loop: Header=BB6_3 Depth=1
	s_andn2_saveexec_b64 s[24:25], s[0:1]
; %bb.46:                               ;   in Loop: Header=BB6_3 Depth=1
	v_or_b32_e32 v5, 0x10000, v44
	v_cmp_eq_u32_sdwa s[0:1], v44, v32 src0_sel:WORD_0 src1_sel:DWORD
	v_cndmask_b32_e64 v5, v5, v44, s[0:1]
; %bb.47:                               ;   in Loop: Header=BB6_3 Depth=1
	s_or_b64 exec, exec, s[24:25]
	v_and_b32_e32 v23, 0xffff0000, v23
	v_fma_f32 v44, v23, v35, v22
	v_and_b32_e32 v23, 0x7f800000, v44
	v_cmp_ne_u32_e64 s[0:1], s6, v23
                                        ; implicit-def: $vgpr23
	s_and_saveexec_b64 s[24:25], s[0:1]
	s_xor_b64 s[0:1], exec, s[24:25]
; %bb.48:                               ;   in Loop: Header=BB6_3 Depth=1
	v_bfe_u32 v23, v44, 16, 1
	v_add3_u32 v23, v44, v23, s27
                                        ; implicit-def: $vgpr44
; %bb.49:                               ;   in Loop: Header=BB6_3 Depth=1
	s_andn2_saveexec_b64 s[24:25], s[0:1]
; %bb.50:                               ;   in Loop: Header=BB6_3 Depth=1
	v_or_b32_e32 v23, 0x10000, v44
	v_cmp_eq_u32_sdwa s[0:1], v44, v32 src0_sel:WORD_0 src1_sel:DWORD
	v_cndmask_b32_e64 v23, v23, v44, s[0:1]
; %bb.51:                               ;   in Loop: Header=BB6_3 Depth=1
	s_or_b64 exec, exec, s[24:25]
	v_and_b32_e32 v36, 0xffff0000, v36
	v_fma_f32 v44, v36, v35, v22
	v_and_b32_e32 v36, 0x7f800000, v44
	v_cmp_ne_u32_e64 s[0:1], s6, v36
                                        ; implicit-def: $vgpr36
	s_and_saveexec_b64 s[24:25], s[0:1]
	s_xor_b64 s[0:1], exec, s[24:25]
; %bb.52:                               ;   in Loop: Header=BB6_3 Depth=1
	v_bfe_u32 v36, v44, 16, 1
	v_add3_u32 v36, v44, v36, s27
                                        ; implicit-def: $vgpr44
; %bb.53:                               ;   in Loop: Header=BB6_3 Depth=1
	s_andn2_saveexec_b64 s[24:25], s[0:1]
; %bb.54:                               ;   in Loop: Header=BB6_3 Depth=1
	v_or_b32_e32 v36, 0x10000, v44
	v_cmp_eq_u32_sdwa s[0:1], v44, v32 src0_sel:WORD_0 src1_sel:DWORD
	v_cndmask_b32_e64 v36, v36, v44, s[0:1]
; %bb.55:                               ;   in Loop: Header=BB6_3 Depth=1
	s_or_b64 exec, exec, s[24:25]
	v_and_b32_e32 v37, 0xffff0000, v37
	v_fma_f32 v44, v37, v35, v22
	v_and_b32_e32 v37, 0x7f800000, v44
	v_cmp_ne_u32_e64 s[0:1], s6, v37
                                        ; implicit-def: $vgpr37
	s_and_saveexec_b64 s[24:25], s[0:1]
	s_xor_b64 s[0:1], exec, s[24:25]
; %bb.56:                               ;   in Loop: Header=BB6_3 Depth=1
	v_bfe_u32 v37, v44, 16, 1
	v_add3_u32 v37, v44, v37, s27
                                        ; implicit-def: $vgpr44
; %bb.57:                               ;   in Loop: Header=BB6_3 Depth=1
	s_andn2_saveexec_b64 s[24:25], s[0:1]
; %bb.58:                               ;   in Loop: Header=BB6_3 Depth=1
	v_or_b32_e32 v37, 0x10000, v44
	v_cmp_eq_u32_sdwa s[0:1], v44, v32 src0_sel:WORD_0 src1_sel:DWORD
	v_cndmask_b32_e64 v37, v37, v44, s[0:1]
; %bb.59:                               ;   in Loop: Header=BB6_3 Depth=1
	s_or_b64 exec, exec, s[24:25]
	v_and_b32_e32 v38, 0xffff0000, v38
	v_fma_f32 v44, v38, v35, v22
	v_and_b32_e32 v38, 0x7f800000, v44
	v_cmp_ne_u32_e64 s[0:1], s6, v38
                                        ; implicit-def: $vgpr38
	s_and_saveexec_b64 s[24:25], s[0:1]
	s_xor_b64 s[0:1], exec, s[24:25]
; %bb.60:                               ;   in Loop: Header=BB6_3 Depth=1
	v_bfe_u32 v38, v44, 16, 1
	v_add3_u32 v38, v44, v38, s27
                                        ; implicit-def: $vgpr44
; %bb.61:                               ;   in Loop: Header=BB6_3 Depth=1
	s_andn2_saveexec_b64 s[24:25], s[0:1]
; %bb.62:                               ;   in Loop: Header=BB6_3 Depth=1
	v_or_b32_e32 v38, 0x10000, v44
	v_cmp_eq_u32_sdwa s[0:1], v44, v32 src0_sel:WORD_0 src1_sel:DWORD
	v_cndmask_b32_e64 v38, v38, v44, s[0:1]
; %bb.63:                               ;   in Loop: Header=BB6_3 Depth=1
	s_or_b64 exec, exec, s[24:25]
	v_and_b32_e32 v39, 0xffff0000, v39
	v_fma_f32 v44, v39, v35, v22
	v_and_b32_e32 v39, 0x7f800000, v44
	v_cmp_ne_u32_e64 s[0:1], s6, v39
                                        ; implicit-def: $vgpr39
	s_and_saveexec_b64 s[24:25], s[0:1]
	s_xor_b64 s[0:1], exec, s[24:25]
; %bb.64:                               ;   in Loop: Header=BB6_3 Depth=1
	v_bfe_u32 v39, v44, 16, 1
	v_add3_u32 v39, v44, v39, s27
                                        ; implicit-def: $vgpr44
; %bb.65:                               ;   in Loop: Header=BB6_3 Depth=1
	s_andn2_saveexec_b64 s[24:25], s[0:1]
; %bb.66:                               ;   in Loop: Header=BB6_3 Depth=1
	v_or_b32_e32 v39, 0x10000, v44
	v_cmp_eq_u32_sdwa s[0:1], v44, v32 src0_sel:WORD_0 src1_sel:DWORD
	v_cndmask_b32_e64 v39, v39, v44, s[0:1]
; %bb.67:                               ;   in Loop: Header=BB6_3 Depth=1
	s_or_b64 exec, exec, s[24:25]
	v_and_b32_e32 v40, 0xffff0000, v40
	v_fma_f32 v44, v40, v35, v22
	v_and_b32_e32 v40, 0x7f800000, v44
	v_cmp_ne_u32_e64 s[0:1], s6, v40
                                        ; implicit-def: $vgpr40
	s_and_saveexec_b64 s[24:25], s[0:1]
	s_xor_b64 s[0:1], exec, s[24:25]
; %bb.68:                               ;   in Loop: Header=BB6_3 Depth=1
	v_bfe_u32 v40, v44, 16, 1
	v_add3_u32 v40, v44, v40, s27
                                        ; implicit-def: $vgpr44
; %bb.69:                               ;   in Loop: Header=BB6_3 Depth=1
	s_andn2_saveexec_b64 s[24:25], s[0:1]
; %bb.70:                               ;   in Loop: Header=BB6_3 Depth=1
	v_or_b32_e32 v40, 0x10000, v44
	v_cmp_eq_u32_sdwa s[0:1], v44, v32 src0_sel:WORD_0 src1_sel:DWORD
	v_cndmask_b32_e64 v40, v40, v44, s[0:1]
; %bb.71:                               ;   in Loop: Header=BB6_3 Depth=1
	s_or_b64 exec, exec, s[24:25]
	v_and_b32_e32 v41, 0xffff0000, v41
	v_fma_f32 v44, v41, v35, v22
	v_and_b32_e32 v41, 0x7f800000, v44
	v_cmp_ne_u32_e64 s[0:1], s6, v41
                                        ; implicit-def: $vgpr41
	s_and_saveexec_b64 s[24:25], s[0:1]
	s_xor_b64 s[0:1], exec, s[24:25]
; %bb.72:                               ;   in Loop: Header=BB6_3 Depth=1
	v_bfe_u32 v41, v44, 16, 1
	v_add3_u32 v41, v44, v41, s27
                                        ; implicit-def: $vgpr44
; %bb.73:                               ;   in Loop: Header=BB6_3 Depth=1
	s_andn2_saveexec_b64 s[24:25], s[0:1]
; %bb.74:                               ;   in Loop: Header=BB6_3 Depth=1
	v_or_b32_e32 v41, 0x10000, v44
	v_cmp_eq_u32_sdwa s[0:1], v44, v32 src0_sel:WORD_0 src1_sel:DWORD
	v_cndmask_b32_e64 v41, v41, v44, s[0:1]
; %bb.75:                               ;   in Loop: Header=BB6_3 Depth=1
	s_or_b64 exec, exec, s[24:25]
	v_lshrrev_b32_e32 v45, 4, v43
	;;#ASMSTART
	v_and_or_b32 v44, v43, v33, v34
	;;#ASMEND
	;;#ASMSTART
	v_and_or_b32 v46, v45, v33, v34
	;;#ASMEND
	v_lshrrev_b32_e32 v45, 8, v43
	v_lshrrev_b32_e32 v43, 12, v43
	;;#ASMSTART
	v_and_or_b32 v48, v45, v33, v34
	;;#ASMEND
	;;#ASMSTART
	v_and_or_b32 v50, v43, v33, v34
	;;#ASMEND
	v_lshlrev_b32_e32 v43, 16, v44
	v_add_f32_e32 v45, 0xc3080000, v43
	v_and_b32_e32 v43, 0x7f800000, v45
	v_cmp_ne_u32_e64 s[0:1], s6, v43
                                        ; implicit-def: $vgpr43
	s_and_saveexec_b64 s[24:25], s[0:1]
	s_xor_b64 s[0:1], exec, s[24:25]
; %bb.76:                               ;   in Loop: Header=BB6_3 Depth=1
	v_bfe_u32 v43, v45, 16, 1
	v_add3_u32 v43, v45, v43, s27
                                        ; implicit-def: $vgpr45
; %bb.77:                               ;   in Loop: Header=BB6_3 Depth=1
	s_andn2_saveexec_b64 s[24:25], s[0:1]
; %bb.78:                               ;   in Loop: Header=BB6_3 Depth=1
	v_or_b32_e32 v43, 0x10000, v45
	v_cmp_eq_u32_sdwa s[0:1], v45, v32 src0_sel:WORD_0 src1_sel:DWORD
	v_cndmask_b32_e64 v43, v43, v45, s[0:1]
; %bb.79:                               ;   in Loop: Header=BB6_3 Depth=1
	s_or_b64 exec, exec, s[24:25]
	v_and_b32_e32 v44, 0xffff0000, v44
	v_add_f32_e32 v45, 0xc3080000, v44
	v_and_b32_e32 v44, 0x7f800000, v45
	v_cmp_ne_u32_e64 s[0:1], s6, v44
                                        ; implicit-def: $vgpr44
	s_and_saveexec_b64 s[24:25], s[0:1]
	s_xor_b64 s[0:1], exec, s[24:25]
; %bb.80:                               ;   in Loop: Header=BB6_3 Depth=1
	v_bfe_u32 v44, v45, 16, 1
	v_add3_u32 v44, v45, v44, s27
                                        ; implicit-def: $vgpr45
; %bb.81:                               ;   in Loop: Header=BB6_3 Depth=1
	s_andn2_saveexec_b64 s[24:25], s[0:1]
; %bb.82:                               ;   in Loop: Header=BB6_3 Depth=1
	v_or_b32_e32 v44, 0x10000, v45
	v_cmp_eq_u32_sdwa s[0:1], v45, v32 src0_sel:WORD_0 src1_sel:DWORD
	v_cndmask_b32_e64 v44, v44, v45, s[0:1]
; %bb.83:                               ;   in Loop: Header=BB6_3 Depth=1
	s_or_b64 exec, exec, s[24:25]
	v_lshlrev_b32_e32 v45, 16, v46
	v_add_f32_e32 v47, 0xc3080000, v45
	v_and_b32_e32 v45, 0x7f800000, v47
	v_cmp_ne_u32_e64 s[0:1], s6, v45
                                        ; implicit-def: $vgpr45
	s_and_saveexec_b64 s[24:25], s[0:1]
	s_xor_b64 s[0:1], exec, s[24:25]
; %bb.84:                               ;   in Loop: Header=BB6_3 Depth=1
	v_bfe_u32 v45, v47, 16, 1
	v_add3_u32 v45, v47, v45, s27
                                        ; implicit-def: $vgpr47
; %bb.85:                               ;   in Loop: Header=BB6_3 Depth=1
	s_andn2_saveexec_b64 s[24:25], s[0:1]
; %bb.86:                               ;   in Loop: Header=BB6_3 Depth=1
	v_or_b32_e32 v45, 0x10000, v47
	v_cmp_eq_u32_sdwa s[0:1], v47, v32 src0_sel:WORD_0 src1_sel:DWORD
	v_cndmask_b32_e64 v45, v45, v47, s[0:1]
; %bb.87:                               ;   in Loop: Header=BB6_3 Depth=1
	s_or_b64 exec, exec, s[24:25]
	v_and_b32_e32 v46, 0xffff0000, v46
	v_add_f32_e32 v47, 0xc3080000, v46
	v_and_b32_e32 v46, 0x7f800000, v47
	v_cmp_ne_u32_e64 s[0:1], s6, v46
                                        ; implicit-def: $vgpr46
	s_and_saveexec_b64 s[24:25], s[0:1]
	s_xor_b64 s[0:1], exec, s[24:25]
; %bb.88:                               ;   in Loop: Header=BB6_3 Depth=1
	v_bfe_u32 v46, v47, 16, 1
	v_add3_u32 v46, v47, v46, s27
                                        ; implicit-def: $vgpr47
; %bb.89:                               ;   in Loop: Header=BB6_3 Depth=1
	s_andn2_saveexec_b64 s[24:25], s[0:1]
; %bb.90:                               ;   in Loop: Header=BB6_3 Depth=1
	v_or_b32_e32 v46, 0x10000, v47
	v_cmp_eq_u32_sdwa s[0:1], v47, v32 src0_sel:WORD_0 src1_sel:DWORD
	v_cndmask_b32_e64 v46, v46, v47, s[0:1]
; %bb.91:                               ;   in Loop: Header=BB6_3 Depth=1
	s_or_b64 exec, exec, s[24:25]
	v_lshlrev_b32_e32 v47, 16, v48
	v_add_f32_e32 v49, 0xc3080000, v47
	v_and_b32_e32 v47, 0x7f800000, v49
	v_cmp_ne_u32_e64 s[0:1], s6, v47
                                        ; implicit-def: $vgpr47
	s_and_saveexec_b64 s[24:25], s[0:1]
	s_xor_b64 s[0:1], exec, s[24:25]
; %bb.92:                               ;   in Loop: Header=BB6_3 Depth=1
	v_bfe_u32 v47, v49, 16, 1
	v_add3_u32 v47, v49, v47, s27
                                        ; implicit-def: $vgpr49
; %bb.93:                               ;   in Loop: Header=BB6_3 Depth=1
	s_andn2_saveexec_b64 s[24:25], s[0:1]
; %bb.94:                               ;   in Loop: Header=BB6_3 Depth=1
	v_or_b32_e32 v47, 0x10000, v49
	v_cmp_eq_u32_sdwa s[0:1], v49, v32 src0_sel:WORD_0 src1_sel:DWORD
	v_cndmask_b32_e64 v47, v47, v49, s[0:1]
; %bb.95:                               ;   in Loop: Header=BB6_3 Depth=1
	s_or_b64 exec, exec, s[24:25]
	v_and_b32_e32 v48, 0xffff0000, v48
	v_add_f32_e32 v49, 0xc3080000, v48
	v_and_b32_e32 v48, 0x7f800000, v49
	v_cmp_ne_u32_e64 s[0:1], s6, v48
                                        ; implicit-def: $vgpr48
	s_and_saveexec_b64 s[24:25], s[0:1]
	s_xor_b64 s[0:1], exec, s[24:25]
; %bb.96:                               ;   in Loop: Header=BB6_3 Depth=1
	v_bfe_u32 v48, v49, 16, 1
	v_add3_u32 v48, v49, v48, s27
                                        ; implicit-def: $vgpr49
; %bb.97:                               ;   in Loop: Header=BB6_3 Depth=1
	s_andn2_saveexec_b64 s[24:25], s[0:1]
; %bb.98:                               ;   in Loop: Header=BB6_3 Depth=1
	v_or_b32_e32 v48, 0x10000, v49
	v_cmp_eq_u32_sdwa s[0:1], v49, v32 src0_sel:WORD_0 src1_sel:DWORD
	v_cndmask_b32_e64 v48, v48, v49, s[0:1]
; %bb.99:                               ;   in Loop: Header=BB6_3 Depth=1
	s_or_b64 exec, exec, s[24:25]
	v_lshlrev_b32_e32 v49, 16, v50
	v_add_f32_e32 v52, 0xc3080000, v49
	v_and_b32_e32 v49, 0x7f800000, v52
	v_cmp_ne_u32_e64 s[0:1], s6, v49
                                        ; implicit-def: $vgpr49
	s_and_saveexec_b64 s[24:25], s[0:1]
	s_xor_b64 s[0:1], exec, s[24:25]
; %bb.100:                              ;   in Loop: Header=BB6_3 Depth=1
	v_bfe_u32 v49, v52, 16, 1
	v_add3_u32 v49, v52, v49, s27
                                        ; implicit-def: $vgpr52
; %bb.101:                              ;   in Loop: Header=BB6_3 Depth=1
	s_andn2_saveexec_b64 s[24:25], s[0:1]
; %bb.102:                              ;   in Loop: Header=BB6_3 Depth=1
	v_or_b32_e32 v49, 0x10000, v52
	v_cmp_eq_u32_sdwa s[0:1], v52, v32 src0_sel:WORD_0 src1_sel:DWORD
	v_cndmask_b32_e64 v49, v49, v52, s[0:1]
; %bb.103:                              ;   in Loop: Header=BB6_3 Depth=1
	s_or_b64 exec, exec, s[24:25]
	v_and_b32_e32 v50, 0xffff0000, v50
	v_add_f32_e32 v52, 0xc3080000, v50
	v_and_b32_e32 v50, 0x7f800000, v52
	v_cmp_ne_u32_e64 s[0:1], s6, v50
                                        ; implicit-def: $vgpr50
	s_and_saveexec_b64 s[24:25], s[0:1]
	s_xor_b64 s[0:1], exec, s[24:25]
; %bb.104:                              ;   in Loop: Header=BB6_3 Depth=1
	v_bfe_u32 v50, v52, 16, 1
	v_add3_u32 v50, v52, v50, s27
                                        ; implicit-def: $vgpr52
; %bb.105:                              ;   in Loop: Header=BB6_3 Depth=1
	s_andn2_saveexec_b64 s[24:25], s[0:1]
; %bb.106:                              ;   in Loop: Header=BB6_3 Depth=1
	v_or_b32_e32 v50, 0x10000, v52
	v_cmp_eq_u32_sdwa s[0:1], v52, v32 src0_sel:WORD_0 src1_sel:DWORD
	v_cndmask_b32_e64 v50, v50, v52, s[0:1]
; %bb.107:                              ;   in Loop: Header=BB6_3 Depth=1
	s_or_b64 exec, exec, s[24:25]
	v_and_b32_e32 v43, 0xffff0000, v43
	v_fma_f32 v52, v43, v35, v22
	v_and_b32_e32 v43, 0x7f800000, v52
	v_cmp_ne_u32_e64 s[0:1], s6, v43
                                        ; implicit-def: $vgpr43
	s_and_saveexec_b64 s[24:25], s[0:1]
	s_xor_b64 s[0:1], exec, s[24:25]
; %bb.108:                              ;   in Loop: Header=BB6_3 Depth=1
	v_bfe_u32 v43, v52, 16, 1
	v_add3_u32 v43, v52, v43, s27
                                        ; implicit-def: $vgpr52
; %bb.109:                              ;   in Loop: Header=BB6_3 Depth=1
	s_andn2_saveexec_b64 s[24:25], s[0:1]
; %bb.110:                              ;   in Loop: Header=BB6_3 Depth=1
	v_or_b32_e32 v43, 0x10000, v52
	v_cmp_eq_u32_sdwa s[0:1], v52, v32 src0_sel:WORD_0 src1_sel:DWORD
	v_cndmask_b32_e64 v43, v43, v52, s[0:1]
; %bb.111:                              ;   in Loop: Header=BB6_3 Depth=1
	s_or_b64 exec, exec, s[24:25]
	v_and_b32_e32 v44, 0xffff0000, v44
	v_fma_f32 v52, v44, v35, v22
	v_and_b32_e32 v44, 0x7f800000, v52
	v_cmp_ne_u32_e64 s[0:1], s6, v44
                                        ; implicit-def: $vgpr44
	s_and_saveexec_b64 s[24:25], s[0:1]
	s_xor_b64 s[0:1], exec, s[24:25]
; %bb.112:                              ;   in Loop: Header=BB6_3 Depth=1
	v_bfe_u32 v44, v52, 16, 1
	v_add3_u32 v44, v52, v44, s27
                                        ; implicit-def: $vgpr52
; %bb.113:                              ;   in Loop: Header=BB6_3 Depth=1
	s_andn2_saveexec_b64 s[24:25], s[0:1]
; %bb.114:                              ;   in Loop: Header=BB6_3 Depth=1
	v_or_b32_e32 v44, 0x10000, v52
	v_cmp_eq_u32_sdwa s[0:1], v52, v32 src0_sel:WORD_0 src1_sel:DWORD
	v_cndmask_b32_e64 v44, v44, v52, s[0:1]
; %bb.115:                              ;   in Loop: Header=BB6_3 Depth=1
	s_or_b64 exec, exec, s[24:25]
	v_and_b32_e32 v45, 0xffff0000, v45
	v_fma_f32 v52, v45, v35, v22
	v_and_b32_e32 v45, 0x7f800000, v52
	v_cmp_ne_u32_e64 s[0:1], s6, v45
                                        ; implicit-def: $vgpr45
	s_and_saveexec_b64 s[24:25], s[0:1]
	s_xor_b64 s[0:1], exec, s[24:25]
; %bb.116:                              ;   in Loop: Header=BB6_3 Depth=1
	v_bfe_u32 v45, v52, 16, 1
	v_add3_u32 v45, v52, v45, s27
                                        ; implicit-def: $vgpr52
; %bb.117:                              ;   in Loop: Header=BB6_3 Depth=1
	s_andn2_saveexec_b64 s[24:25], s[0:1]
; %bb.118:                              ;   in Loop: Header=BB6_3 Depth=1
	v_or_b32_e32 v45, 0x10000, v52
	v_cmp_eq_u32_sdwa s[0:1], v52, v32 src0_sel:WORD_0 src1_sel:DWORD
	v_cndmask_b32_e64 v45, v45, v52, s[0:1]
; %bb.119:                              ;   in Loop: Header=BB6_3 Depth=1
	s_or_b64 exec, exec, s[24:25]
	v_and_b32_e32 v46, 0xffff0000, v46
	v_fma_f32 v52, v46, v35, v22
	v_and_b32_e32 v46, 0x7f800000, v52
	v_cmp_ne_u32_e64 s[0:1], s6, v46
                                        ; implicit-def: $vgpr46
	s_and_saveexec_b64 s[24:25], s[0:1]
	s_xor_b64 s[0:1], exec, s[24:25]
; %bb.120:                              ;   in Loop: Header=BB6_3 Depth=1
	v_bfe_u32 v46, v52, 16, 1
	v_add3_u32 v46, v52, v46, s27
                                        ; implicit-def: $vgpr52
; %bb.121:                              ;   in Loop: Header=BB6_3 Depth=1
	s_andn2_saveexec_b64 s[24:25], s[0:1]
; %bb.122:                              ;   in Loop: Header=BB6_3 Depth=1
	v_or_b32_e32 v46, 0x10000, v52
	v_cmp_eq_u32_sdwa s[0:1], v52, v32 src0_sel:WORD_0 src1_sel:DWORD
	v_cndmask_b32_e64 v46, v46, v52, s[0:1]
; %bb.123:                              ;   in Loop: Header=BB6_3 Depth=1
	s_or_b64 exec, exec, s[24:25]
	v_and_b32_e32 v47, 0xffff0000, v47
	v_fma_f32 v52, v47, v35, v22
	v_and_b32_e32 v47, 0x7f800000, v52
	v_cmp_ne_u32_e64 s[0:1], s6, v47
                                        ; implicit-def: $vgpr47
	s_and_saveexec_b64 s[24:25], s[0:1]
	s_xor_b64 s[0:1], exec, s[24:25]
; %bb.124:                              ;   in Loop: Header=BB6_3 Depth=1
	v_bfe_u32 v47, v52, 16, 1
	v_add3_u32 v47, v52, v47, s27
                                        ; implicit-def: $vgpr52
; %bb.125:                              ;   in Loop: Header=BB6_3 Depth=1
	s_andn2_saveexec_b64 s[24:25], s[0:1]
; %bb.126:                              ;   in Loop: Header=BB6_3 Depth=1
	v_or_b32_e32 v47, 0x10000, v52
	v_cmp_eq_u32_sdwa s[0:1], v52, v32 src0_sel:WORD_0 src1_sel:DWORD
	v_cndmask_b32_e64 v47, v47, v52, s[0:1]
; %bb.127:                              ;   in Loop: Header=BB6_3 Depth=1
	s_or_b64 exec, exec, s[24:25]
	v_and_b32_e32 v48, 0xffff0000, v48
	v_fma_f32 v52, v48, v35, v22
	v_and_b32_e32 v48, 0x7f800000, v52
	v_cmp_ne_u32_e64 s[0:1], s6, v48
                                        ; implicit-def: $vgpr48
	s_and_saveexec_b64 s[24:25], s[0:1]
	s_xor_b64 s[0:1], exec, s[24:25]
; %bb.128:                              ;   in Loop: Header=BB6_3 Depth=1
	v_bfe_u32 v48, v52, 16, 1
	v_add3_u32 v48, v52, v48, s27
                                        ; implicit-def: $vgpr52
; %bb.129:                              ;   in Loop: Header=BB6_3 Depth=1
	s_andn2_saveexec_b64 s[24:25], s[0:1]
; %bb.130:                              ;   in Loop: Header=BB6_3 Depth=1
	v_or_b32_e32 v48, 0x10000, v52
	v_cmp_eq_u32_sdwa s[0:1], v52, v32 src0_sel:WORD_0 src1_sel:DWORD
	v_cndmask_b32_e64 v48, v48, v52, s[0:1]
; %bb.131:                              ;   in Loop: Header=BB6_3 Depth=1
	s_or_b64 exec, exec, s[24:25]
	v_and_b32_e32 v49, 0xffff0000, v49
	v_fma_f32 v52, v49, v35, v22
	v_and_b32_e32 v49, 0x7f800000, v52
	v_cmp_ne_u32_e64 s[0:1], s6, v49
                                        ; implicit-def: $vgpr49
	s_and_saveexec_b64 s[24:25], s[0:1]
	s_xor_b64 s[0:1], exec, s[24:25]
; %bb.132:                              ;   in Loop: Header=BB6_3 Depth=1
	v_bfe_u32 v49, v52, 16, 1
	v_add3_u32 v49, v52, v49, s27
                                        ; implicit-def: $vgpr52
; %bb.133:                              ;   in Loop: Header=BB6_3 Depth=1
	s_andn2_saveexec_b64 s[24:25], s[0:1]
; %bb.134:                              ;   in Loop: Header=BB6_3 Depth=1
	v_or_b32_e32 v49, 0x10000, v52
	v_cmp_eq_u32_sdwa s[0:1], v52, v32 src0_sel:WORD_0 src1_sel:DWORD
	v_cndmask_b32_e64 v49, v49, v52, s[0:1]
; %bb.135:                              ;   in Loop: Header=BB6_3 Depth=1
	s_or_b64 exec, exec, s[24:25]
	v_and_b32_e32 v50, 0xffff0000, v50
	v_fma_f32 v52, v50, v35, v22
	v_and_b32_e32 v50, 0x7f800000, v52
	v_cmp_ne_u32_e64 s[0:1], s6, v50
                                        ; implicit-def: $vgpr50
	s_and_saveexec_b64 s[24:25], s[0:1]
	s_xor_b64 s[0:1], exec, s[24:25]
; %bb.136:                              ;   in Loop: Header=BB6_3 Depth=1
	v_bfe_u32 v50, v52, 16, 1
	v_add3_u32 v50, v52, v50, s27
                                        ; implicit-def: $vgpr52
; %bb.137:                              ;   in Loop: Header=BB6_3 Depth=1
	s_andn2_saveexec_b64 s[24:25], s[0:1]
; %bb.138:                              ;   in Loop: Header=BB6_3 Depth=1
	v_or_b32_e32 v50, 0x10000, v52
	v_cmp_eq_u32_sdwa s[0:1], v52, v32 src0_sel:WORD_0 src1_sel:DWORD
	v_cndmask_b32_e64 v50, v50, v52, s[0:1]
; %bb.139:                              ;   in Loop: Header=BB6_3 Depth=1
	s_or_b64 exec, exec, s[24:25]
	v_lshrrev_b32_e32 v53, 4, v51
	;;#ASMSTART
	v_and_or_b32 v52, v51, v33, v34
	;;#ASMEND
	;;#ASMSTART
	v_and_or_b32 v54, v53, v33, v34
	;;#ASMEND
	v_lshrrev_b32_e32 v53, 8, v51
	v_lshrrev_b32_e32 v51, 12, v51
	;;#ASMSTART
	v_and_or_b32 v56, v53, v33, v34
	;;#ASMEND
	;;#ASMSTART
	v_and_or_b32 v58, v51, v33, v34
	;;#ASMEND
	v_lshlrev_b32_e32 v51, 16, v52
	v_add_f32_e32 v53, 0xc3080000, v51
	v_and_b32_e32 v51, 0x7f800000, v53
	v_cmp_ne_u32_e64 s[0:1], s6, v51
                                        ; implicit-def: $vgpr51
	s_and_saveexec_b64 s[24:25], s[0:1]
	s_xor_b64 s[0:1], exec, s[24:25]
; %bb.140:                              ;   in Loop: Header=BB6_3 Depth=1
	v_bfe_u32 v51, v53, 16, 1
	v_add3_u32 v51, v53, v51, s27
                                        ; implicit-def: $vgpr53
; %bb.141:                              ;   in Loop: Header=BB6_3 Depth=1
	s_andn2_saveexec_b64 s[24:25], s[0:1]
; %bb.142:                              ;   in Loop: Header=BB6_3 Depth=1
	v_or_b32_e32 v51, 0x10000, v53
	v_cmp_eq_u32_sdwa s[0:1], v53, v32 src0_sel:WORD_0 src1_sel:DWORD
	v_cndmask_b32_e64 v51, v51, v53, s[0:1]
; %bb.143:                              ;   in Loop: Header=BB6_3 Depth=1
	s_or_b64 exec, exec, s[24:25]
	v_and_b32_e32 v52, 0xffff0000, v52
	v_add_f32_e32 v53, 0xc3080000, v52
	v_and_b32_e32 v52, 0x7f800000, v53
	v_cmp_ne_u32_e64 s[0:1], s6, v52
                                        ; implicit-def: $vgpr52
	s_and_saveexec_b64 s[24:25], s[0:1]
	s_xor_b64 s[0:1], exec, s[24:25]
; %bb.144:                              ;   in Loop: Header=BB6_3 Depth=1
	v_bfe_u32 v52, v53, 16, 1
	v_add3_u32 v52, v53, v52, s27
                                        ; implicit-def: $vgpr53
; %bb.145:                              ;   in Loop: Header=BB6_3 Depth=1
	s_andn2_saveexec_b64 s[24:25], s[0:1]
; %bb.146:                              ;   in Loop: Header=BB6_3 Depth=1
	v_or_b32_e32 v52, 0x10000, v53
	v_cmp_eq_u32_sdwa s[0:1], v53, v32 src0_sel:WORD_0 src1_sel:DWORD
	v_cndmask_b32_e64 v52, v52, v53, s[0:1]
; %bb.147:                              ;   in Loop: Header=BB6_3 Depth=1
	s_or_b64 exec, exec, s[24:25]
	v_lshlrev_b32_e32 v53, 16, v54
	v_add_f32_e32 v55, 0xc3080000, v53
	v_and_b32_e32 v53, 0x7f800000, v55
	v_cmp_ne_u32_e64 s[0:1], s6, v53
                                        ; implicit-def: $vgpr53
	s_and_saveexec_b64 s[24:25], s[0:1]
	s_xor_b64 s[0:1], exec, s[24:25]
; %bb.148:                              ;   in Loop: Header=BB6_3 Depth=1
	v_bfe_u32 v53, v55, 16, 1
	v_add3_u32 v53, v55, v53, s27
                                        ; implicit-def: $vgpr55
; %bb.149:                              ;   in Loop: Header=BB6_3 Depth=1
	s_andn2_saveexec_b64 s[24:25], s[0:1]
; %bb.150:                              ;   in Loop: Header=BB6_3 Depth=1
	v_or_b32_e32 v53, 0x10000, v55
	v_cmp_eq_u32_sdwa s[0:1], v55, v32 src0_sel:WORD_0 src1_sel:DWORD
	v_cndmask_b32_e64 v53, v53, v55, s[0:1]
; %bb.151:                              ;   in Loop: Header=BB6_3 Depth=1
	s_or_b64 exec, exec, s[24:25]
	v_and_b32_e32 v54, 0xffff0000, v54
	v_add_f32_e32 v55, 0xc3080000, v54
	v_and_b32_e32 v54, 0x7f800000, v55
	v_cmp_ne_u32_e64 s[0:1], s6, v54
                                        ; implicit-def: $vgpr54
	s_and_saveexec_b64 s[24:25], s[0:1]
	s_xor_b64 s[0:1], exec, s[24:25]
; %bb.152:                              ;   in Loop: Header=BB6_3 Depth=1
	v_bfe_u32 v54, v55, 16, 1
	v_add3_u32 v54, v55, v54, s27
                                        ; implicit-def: $vgpr55
; %bb.153:                              ;   in Loop: Header=BB6_3 Depth=1
	s_andn2_saveexec_b64 s[24:25], s[0:1]
; %bb.154:                              ;   in Loop: Header=BB6_3 Depth=1
	v_or_b32_e32 v54, 0x10000, v55
	v_cmp_eq_u32_sdwa s[0:1], v55, v32 src0_sel:WORD_0 src1_sel:DWORD
	v_cndmask_b32_e64 v54, v54, v55, s[0:1]
; %bb.155:                              ;   in Loop: Header=BB6_3 Depth=1
	s_or_b64 exec, exec, s[24:25]
	v_lshlrev_b32_e32 v55, 16, v56
	v_add_f32_e32 v57, 0xc3080000, v55
	v_and_b32_e32 v55, 0x7f800000, v57
	v_cmp_ne_u32_e64 s[0:1], s6, v55
                                        ; implicit-def: $vgpr55
	s_and_saveexec_b64 s[24:25], s[0:1]
	s_xor_b64 s[0:1], exec, s[24:25]
; %bb.156:                              ;   in Loop: Header=BB6_3 Depth=1
	v_bfe_u32 v55, v57, 16, 1
	v_add3_u32 v55, v57, v55, s27
                                        ; implicit-def: $vgpr57
; %bb.157:                              ;   in Loop: Header=BB6_3 Depth=1
	s_andn2_saveexec_b64 s[24:25], s[0:1]
; %bb.158:                              ;   in Loop: Header=BB6_3 Depth=1
	v_or_b32_e32 v55, 0x10000, v57
	v_cmp_eq_u32_sdwa s[0:1], v57, v32 src0_sel:WORD_0 src1_sel:DWORD
	v_cndmask_b32_e64 v55, v55, v57, s[0:1]
; %bb.159:                              ;   in Loop: Header=BB6_3 Depth=1
	s_or_b64 exec, exec, s[24:25]
	v_and_b32_e32 v56, 0xffff0000, v56
	v_add_f32_e32 v57, 0xc3080000, v56
	v_and_b32_e32 v56, 0x7f800000, v57
	v_cmp_ne_u32_e64 s[0:1], s6, v56
                                        ; implicit-def: $vgpr56
	s_and_saveexec_b64 s[24:25], s[0:1]
	s_xor_b64 s[0:1], exec, s[24:25]
; %bb.160:                              ;   in Loop: Header=BB6_3 Depth=1
	v_bfe_u32 v56, v57, 16, 1
	v_add3_u32 v56, v57, v56, s27
                                        ; implicit-def: $vgpr57
; %bb.161:                              ;   in Loop: Header=BB6_3 Depth=1
	s_andn2_saveexec_b64 s[24:25], s[0:1]
; %bb.162:                              ;   in Loop: Header=BB6_3 Depth=1
	v_or_b32_e32 v56, 0x10000, v57
	v_cmp_eq_u32_sdwa s[0:1], v57, v32 src0_sel:WORD_0 src1_sel:DWORD
	v_cndmask_b32_e64 v56, v56, v57, s[0:1]
; %bb.163:                              ;   in Loop: Header=BB6_3 Depth=1
	s_or_b64 exec, exec, s[24:25]
	v_lshlrev_b32_e32 v57, 16, v58
	v_add_f32_e32 v59, 0xc3080000, v57
	v_and_b32_e32 v57, 0x7f800000, v59
	v_cmp_ne_u32_e64 s[0:1], s6, v57
                                        ; implicit-def: $vgpr57
	s_and_saveexec_b64 s[24:25], s[0:1]
	s_xor_b64 s[0:1], exec, s[24:25]
; %bb.164:                              ;   in Loop: Header=BB6_3 Depth=1
	v_bfe_u32 v57, v59, 16, 1
	v_add3_u32 v57, v59, v57, s27
                                        ; implicit-def: $vgpr59
; %bb.165:                              ;   in Loop: Header=BB6_3 Depth=1
	s_andn2_saveexec_b64 s[24:25], s[0:1]
; %bb.166:                              ;   in Loop: Header=BB6_3 Depth=1
	v_or_b32_e32 v57, 0x10000, v59
	v_cmp_eq_u32_sdwa s[0:1], v59, v32 src0_sel:WORD_0 src1_sel:DWORD
	v_cndmask_b32_e64 v57, v57, v59, s[0:1]
; %bb.167:                              ;   in Loop: Header=BB6_3 Depth=1
	s_or_b64 exec, exec, s[24:25]
	v_and_b32_e32 v58, 0xffff0000, v58
	v_add_f32_e32 v59, 0xc3080000, v58
	v_and_b32_e32 v58, 0x7f800000, v59
	v_cmp_ne_u32_e64 s[0:1], s6, v58
                                        ; implicit-def: $vgpr58
	s_and_saveexec_b64 s[24:25], s[0:1]
	s_xor_b64 s[0:1], exec, s[24:25]
; %bb.168:                              ;   in Loop: Header=BB6_3 Depth=1
	v_bfe_u32 v58, v59, 16, 1
	v_add3_u32 v58, v59, v58, s27
                                        ; implicit-def: $vgpr59
; %bb.169:                              ;   in Loop: Header=BB6_3 Depth=1
	s_andn2_saveexec_b64 s[24:25], s[0:1]
; %bb.170:                              ;   in Loop: Header=BB6_3 Depth=1
	v_or_b32_e32 v58, 0x10000, v59
	v_cmp_eq_u32_sdwa s[0:1], v59, v32 src0_sel:WORD_0 src1_sel:DWORD
	v_cndmask_b32_e64 v58, v58, v59, s[0:1]
; %bb.171:                              ;   in Loop: Header=BB6_3 Depth=1
	s_or_b64 exec, exec, s[24:25]
	v_and_b32_e32 v51, 0xffff0000, v51
	v_fma_f32 v59, v51, v35, v22
	v_and_b32_e32 v51, 0x7f800000, v59
	v_cmp_ne_u32_e64 s[0:1], s6, v51
                                        ; implicit-def: $vgpr51
	s_and_saveexec_b64 s[24:25], s[0:1]
	s_xor_b64 s[0:1], exec, s[24:25]
; %bb.172:                              ;   in Loop: Header=BB6_3 Depth=1
	v_bfe_u32 v51, v59, 16, 1
	v_add3_u32 v51, v59, v51, s27
                                        ; implicit-def: $vgpr59
; %bb.173:                              ;   in Loop: Header=BB6_3 Depth=1
	s_andn2_saveexec_b64 s[24:25], s[0:1]
; %bb.174:                              ;   in Loop: Header=BB6_3 Depth=1
	v_or_b32_e32 v51, 0x10000, v59
	v_cmp_eq_u32_sdwa s[0:1], v59, v32 src0_sel:WORD_0 src1_sel:DWORD
	v_cndmask_b32_e64 v51, v51, v59, s[0:1]
; %bb.175:                              ;   in Loop: Header=BB6_3 Depth=1
	s_or_b64 exec, exec, s[24:25]
	v_and_b32_e32 v52, 0xffff0000, v52
	v_fma_f32 v59, v52, v35, v22
	v_and_b32_e32 v52, 0x7f800000, v59
	v_cmp_ne_u32_e64 s[0:1], s6, v52
                                        ; implicit-def: $vgpr52
	s_and_saveexec_b64 s[24:25], s[0:1]
	s_xor_b64 s[0:1], exec, s[24:25]
; %bb.176:                              ;   in Loop: Header=BB6_3 Depth=1
	v_bfe_u32 v52, v59, 16, 1
	v_add3_u32 v52, v59, v52, s27
                                        ; implicit-def: $vgpr59
; %bb.177:                              ;   in Loop: Header=BB6_3 Depth=1
	s_andn2_saveexec_b64 s[24:25], s[0:1]
; %bb.178:                              ;   in Loop: Header=BB6_3 Depth=1
	v_or_b32_e32 v52, 0x10000, v59
	v_cmp_eq_u32_sdwa s[0:1], v59, v32 src0_sel:WORD_0 src1_sel:DWORD
	v_cndmask_b32_e64 v52, v52, v59, s[0:1]
; %bb.179:                              ;   in Loop: Header=BB6_3 Depth=1
	s_or_b64 exec, exec, s[24:25]
	v_and_b32_e32 v53, 0xffff0000, v53
	v_fma_f32 v59, v53, v35, v22
	v_and_b32_e32 v53, 0x7f800000, v59
	v_cmp_ne_u32_e64 s[0:1], s6, v53
                                        ; implicit-def: $vgpr53
	s_and_saveexec_b64 s[24:25], s[0:1]
	s_xor_b64 s[0:1], exec, s[24:25]
; %bb.180:                              ;   in Loop: Header=BB6_3 Depth=1
	v_bfe_u32 v53, v59, 16, 1
	v_add3_u32 v53, v59, v53, s27
                                        ; implicit-def: $vgpr59
; %bb.181:                              ;   in Loop: Header=BB6_3 Depth=1
	s_andn2_saveexec_b64 s[24:25], s[0:1]
; %bb.182:                              ;   in Loop: Header=BB6_3 Depth=1
	v_or_b32_e32 v53, 0x10000, v59
	v_cmp_eq_u32_sdwa s[0:1], v59, v32 src0_sel:WORD_0 src1_sel:DWORD
	v_cndmask_b32_e64 v53, v53, v59, s[0:1]
; %bb.183:                              ;   in Loop: Header=BB6_3 Depth=1
	s_or_b64 exec, exec, s[24:25]
	v_and_b32_e32 v54, 0xffff0000, v54
	v_fma_f32 v59, v54, v35, v22
	v_and_b32_e32 v54, 0x7f800000, v59
	v_cmp_ne_u32_e64 s[0:1], s6, v54
                                        ; implicit-def: $vgpr54
	s_and_saveexec_b64 s[24:25], s[0:1]
	s_xor_b64 s[0:1], exec, s[24:25]
; %bb.184:                              ;   in Loop: Header=BB6_3 Depth=1
	v_bfe_u32 v54, v59, 16, 1
	v_add3_u32 v54, v59, v54, s27
                                        ; implicit-def: $vgpr59
; %bb.185:                              ;   in Loop: Header=BB6_3 Depth=1
	s_andn2_saveexec_b64 s[24:25], s[0:1]
; %bb.186:                              ;   in Loop: Header=BB6_3 Depth=1
	v_or_b32_e32 v54, 0x10000, v59
	v_cmp_eq_u32_sdwa s[0:1], v59, v32 src0_sel:WORD_0 src1_sel:DWORD
	v_cndmask_b32_e64 v54, v54, v59, s[0:1]
; %bb.187:                              ;   in Loop: Header=BB6_3 Depth=1
	s_or_b64 exec, exec, s[24:25]
	v_and_b32_e32 v55, 0xffff0000, v55
	v_fma_f32 v59, v55, v35, v22
	v_and_b32_e32 v55, 0x7f800000, v59
	v_cmp_ne_u32_e64 s[0:1], s6, v55
                                        ; implicit-def: $vgpr55
	s_and_saveexec_b64 s[24:25], s[0:1]
	s_xor_b64 s[0:1], exec, s[24:25]
; %bb.188:                              ;   in Loop: Header=BB6_3 Depth=1
	v_bfe_u32 v55, v59, 16, 1
	v_add3_u32 v55, v59, v55, s27
                                        ; implicit-def: $vgpr59
; %bb.189:                              ;   in Loop: Header=BB6_3 Depth=1
	s_andn2_saveexec_b64 s[24:25], s[0:1]
; %bb.190:                              ;   in Loop: Header=BB6_3 Depth=1
	v_or_b32_e32 v55, 0x10000, v59
	v_cmp_eq_u32_sdwa s[0:1], v59, v32 src0_sel:WORD_0 src1_sel:DWORD
	v_cndmask_b32_e64 v55, v55, v59, s[0:1]
; %bb.191:                              ;   in Loop: Header=BB6_3 Depth=1
	s_or_b64 exec, exec, s[24:25]
	v_and_b32_e32 v56, 0xffff0000, v56
	v_fma_f32 v59, v56, v35, v22
	v_and_b32_e32 v56, 0x7f800000, v59
	v_cmp_ne_u32_e64 s[0:1], s6, v56
                                        ; implicit-def: $vgpr56
	s_and_saveexec_b64 s[24:25], s[0:1]
	s_xor_b64 s[0:1], exec, s[24:25]
; %bb.192:                              ;   in Loop: Header=BB6_3 Depth=1
	v_bfe_u32 v56, v59, 16, 1
	v_add3_u32 v56, v59, v56, s27
                                        ; implicit-def: $vgpr59
; %bb.193:                              ;   in Loop: Header=BB6_3 Depth=1
	s_andn2_saveexec_b64 s[24:25], s[0:1]
; %bb.194:                              ;   in Loop: Header=BB6_3 Depth=1
	v_or_b32_e32 v56, 0x10000, v59
	v_cmp_eq_u32_sdwa s[0:1], v59, v32 src0_sel:WORD_0 src1_sel:DWORD
	v_cndmask_b32_e64 v56, v56, v59, s[0:1]
; %bb.195:                              ;   in Loop: Header=BB6_3 Depth=1
	s_or_b64 exec, exec, s[24:25]
	v_and_b32_e32 v57, 0xffff0000, v57
	v_fma_f32 v59, v57, v35, v22
	v_and_b32_e32 v57, 0x7f800000, v59
	v_cmp_ne_u32_e64 s[0:1], s6, v57
                                        ; implicit-def: $vgpr57
	s_and_saveexec_b64 s[24:25], s[0:1]
	s_xor_b64 s[0:1], exec, s[24:25]
; %bb.196:                              ;   in Loop: Header=BB6_3 Depth=1
	v_bfe_u32 v57, v59, 16, 1
	v_add3_u32 v57, v59, v57, s27
                                        ; implicit-def: $vgpr59
; %bb.197:                              ;   in Loop: Header=BB6_3 Depth=1
	s_andn2_saveexec_b64 s[24:25], s[0:1]
; %bb.198:                              ;   in Loop: Header=BB6_3 Depth=1
	v_or_b32_e32 v57, 0x10000, v59
	v_cmp_eq_u32_sdwa s[0:1], v59, v32 src0_sel:WORD_0 src1_sel:DWORD
	v_cndmask_b32_e64 v57, v57, v59, s[0:1]
; %bb.199:                              ;   in Loop: Header=BB6_3 Depth=1
	s_or_b64 exec, exec, s[24:25]
	v_and_b32_e32 v58, 0xffff0000, v58
	v_fma_f32 v59, v58, v35, v22
	v_and_b32_e32 v58, 0x7f800000, v59
	v_cmp_ne_u32_e64 s[0:1], s6, v58
                                        ; implicit-def: $vgpr58
	s_and_saveexec_b64 s[24:25], s[0:1]
	s_xor_b64 s[0:1], exec, s[24:25]
; %bb.200:                              ;   in Loop: Header=BB6_3 Depth=1
	v_bfe_u32 v58, v59, 16, 1
	v_add3_u32 v58, v59, v58, s27
                                        ; implicit-def: $vgpr59
; %bb.201:                              ;   in Loop: Header=BB6_3 Depth=1
	s_andn2_saveexec_b64 s[24:25], s[0:1]
; %bb.202:                              ;   in Loop: Header=BB6_3 Depth=1
	v_or_b32_e32 v58, 0x10000, v59
	v_cmp_eq_u32_sdwa s[0:1], v59, v32 src0_sel:WORD_0 src1_sel:DWORD
	v_cndmask_b32_e64 v58, v58, v59, s[0:1]
; %bb.203:                              ;   in Loop: Header=BB6_3 Depth=1
	s_or_b64 exec, exec, s[24:25]
	v_lshrrev_b32_e32 v60, 4, v42
	;;#ASMSTART
	v_and_or_b32 v59, v42, v33, v34
	;;#ASMEND
	;;#ASMSTART
	v_and_or_b32 v61, v60, v33, v34
	;;#ASMEND
	v_lshrrev_b32_e32 v60, 8, v42
	v_lshrrev_b32_e32 v42, 12, v42
	;;#ASMSTART
	v_and_or_b32 v63, v60, v33, v34
	;;#ASMEND
	;;#ASMSTART
	v_and_or_b32 v65, v42, v33, v34
	;;#ASMEND
	v_lshlrev_b32_e32 v42, 16, v59
	v_add_f32_e32 v60, 0xc3080000, v42
	v_and_b32_e32 v42, 0x7f800000, v60
	v_cmp_ne_u32_e64 s[0:1], s6, v42
                                        ; implicit-def: $vgpr42
	s_and_saveexec_b64 s[24:25], s[0:1]
	s_xor_b64 s[0:1], exec, s[24:25]
; %bb.204:                              ;   in Loop: Header=BB6_3 Depth=1
	v_bfe_u32 v42, v60, 16, 1
	v_add3_u32 v42, v60, v42, s27
                                        ; implicit-def: $vgpr60
; %bb.205:                              ;   in Loop: Header=BB6_3 Depth=1
	s_andn2_saveexec_b64 s[24:25], s[0:1]
; %bb.206:                              ;   in Loop: Header=BB6_3 Depth=1
	v_or_b32_e32 v42, 0x10000, v60
	v_cmp_eq_u32_sdwa s[0:1], v60, v32 src0_sel:WORD_0 src1_sel:DWORD
	v_cndmask_b32_e64 v42, v42, v60, s[0:1]
; %bb.207:                              ;   in Loop: Header=BB6_3 Depth=1
	s_or_b64 exec, exec, s[24:25]
	v_and_b32_e32 v59, 0xffff0000, v59
	v_add_f32_e32 v60, 0xc3080000, v59
	v_and_b32_e32 v59, 0x7f800000, v60
	v_cmp_ne_u32_e64 s[0:1], s6, v59
                                        ; implicit-def: $vgpr59
	s_and_saveexec_b64 s[24:25], s[0:1]
	s_xor_b64 s[0:1], exec, s[24:25]
; %bb.208:                              ;   in Loop: Header=BB6_3 Depth=1
	v_bfe_u32 v59, v60, 16, 1
	v_add3_u32 v59, v60, v59, s27
                                        ; implicit-def: $vgpr60
; %bb.209:                              ;   in Loop: Header=BB6_3 Depth=1
	s_andn2_saveexec_b64 s[24:25], s[0:1]
; %bb.210:                              ;   in Loop: Header=BB6_3 Depth=1
	v_or_b32_e32 v59, 0x10000, v60
	v_cmp_eq_u32_sdwa s[0:1], v60, v32 src0_sel:WORD_0 src1_sel:DWORD
	v_cndmask_b32_e64 v59, v59, v60, s[0:1]
; %bb.211:                              ;   in Loop: Header=BB6_3 Depth=1
	s_or_b64 exec, exec, s[24:25]
	v_lshlrev_b32_e32 v60, 16, v61
	v_add_f32_e32 v62, 0xc3080000, v60
	v_and_b32_e32 v60, 0x7f800000, v62
	v_cmp_ne_u32_e64 s[0:1], s6, v60
                                        ; implicit-def: $vgpr60
	s_and_saveexec_b64 s[24:25], s[0:1]
	s_xor_b64 s[0:1], exec, s[24:25]
; %bb.212:                              ;   in Loop: Header=BB6_3 Depth=1
	v_bfe_u32 v60, v62, 16, 1
	v_add3_u32 v60, v62, v60, s27
                                        ; implicit-def: $vgpr62
; %bb.213:                              ;   in Loop: Header=BB6_3 Depth=1
	s_andn2_saveexec_b64 s[24:25], s[0:1]
; %bb.214:                              ;   in Loop: Header=BB6_3 Depth=1
	v_or_b32_e32 v60, 0x10000, v62
	v_cmp_eq_u32_sdwa s[0:1], v62, v32 src0_sel:WORD_0 src1_sel:DWORD
	v_cndmask_b32_e64 v60, v60, v62, s[0:1]
; %bb.215:                              ;   in Loop: Header=BB6_3 Depth=1
	s_or_b64 exec, exec, s[24:25]
	v_and_b32_e32 v61, 0xffff0000, v61
	v_add_f32_e32 v62, 0xc3080000, v61
	v_and_b32_e32 v61, 0x7f800000, v62
	v_cmp_ne_u32_e64 s[0:1], s6, v61
                                        ; implicit-def: $vgpr61
	s_and_saveexec_b64 s[24:25], s[0:1]
	s_xor_b64 s[0:1], exec, s[24:25]
; %bb.216:                              ;   in Loop: Header=BB6_3 Depth=1
	v_bfe_u32 v61, v62, 16, 1
	v_add3_u32 v61, v62, v61, s27
                                        ; implicit-def: $vgpr62
; %bb.217:                              ;   in Loop: Header=BB6_3 Depth=1
	s_andn2_saveexec_b64 s[24:25], s[0:1]
; %bb.218:                              ;   in Loop: Header=BB6_3 Depth=1
	v_or_b32_e32 v61, 0x10000, v62
	v_cmp_eq_u32_sdwa s[0:1], v62, v32 src0_sel:WORD_0 src1_sel:DWORD
	v_cndmask_b32_e64 v61, v61, v62, s[0:1]
; %bb.219:                              ;   in Loop: Header=BB6_3 Depth=1
	s_or_b64 exec, exec, s[24:25]
	v_lshlrev_b32_e32 v62, 16, v63
	v_add_f32_e32 v64, 0xc3080000, v62
	v_and_b32_e32 v62, 0x7f800000, v64
	v_cmp_ne_u32_e64 s[0:1], s6, v62
                                        ; implicit-def: $vgpr62
	s_and_saveexec_b64 s[24:25], s[0:1]
	s_xor_b64 s[0:1], exec, s[24:25]
; %bb.220:                              ;   in Loop: Header=BB6_3 Depth=1
	v_bfe_u32 v62, v64, 16, 1
	v_add3_u32 v62, v64, v62, s27
                                        ; implicit-def: $vgpr64
; %bb.221:                              ;   in Loop: Header=BB6_3 Depth=1
	s_andn2_saveexec_b64 s[24:25], s[0:1]
; %bb.222:                              ;   in Loop: Header=BB6_3 Depth=1
	v_or_b32_e32 v62, 0x10000, v64
	v_cmp_eq_u32_sdwa s[0:1], v64, v32 src0_sel:WORD_0 src1_sel:DWORD
	v_cndmask_b32_e64 v62, v62, v64, s[0:1]
; %bb.223:                              ;   in Loop: Header=BB6_3 Depth=1
	s_or_b64 exec, exec, s[24:25]
	v_and_b32_e32 v63, 0xffff0000, v63
	v_add_f32_e32 v64, 0xc3080000, v63
	v_and_b32_e32 v63, 0x7f800000, v64
	v_cmp_ne_u32_e64 s[0:1], s6, v63
                                        ; implicit-def: $vgpr63
	s_and_saveexec_b64 s[24:25], s[0:1]
	s_xor_b64 s[0:1], exec, s[24:25]
; %bb.224:                              ;   in Loop: Header=BB6_3 Depth=1
	v_bfe_u32 v63, v64, 16, 1
	v_add3_u32 v63, v64, v63, s27
                                        ; implicit-def: $vgpr64
; %bb.225:                              ;   in Loop: Header=BB6_3 Depth=1
	s_andn2_saveexec_b64 s[24:25], s[0:1]
; %bb.226:                              ;   in Loop: Header=BB6_3 Depth=1
	v_or_b32_e32 v63, 0x10000, v64
	v_cmp_eq_u32_sdwa s[0:1], v64, v32 src0_sel:WORD_0 src1_sel:DWORD
	v_cndmask_b32_e64 v63, v63, v64, s[0:1]
; %bb.227:                              ;   in Loop: Header=BB6_3 Depth=1
	s_or_b64 exec, exec, s[24:25]
	v_lshlrev_b32_e32 v64, 16, v65
	v_add_f32_e32 v66, 0xc3080000, v64
	v_and_b32_e32 v64, 0x7f800000, v66
	v_cmp_ne_u32_e64 s[0:1], s6, v64
                                        ; implicit-def: $vgpr64
	s_and_saveexec_b64 s[24:25], s[0:1]
	s_xor_b64 s[0:1], exec, s[24:25]
; %bb.228:                              ;   in Loop: Header=BB6_3 Depth=1
	v_bfe_u32 v64, v66, 16, 1
	v_add3_u32 v64, v66, v64, s27
                                        ; implicit-def: $vgpr66
; %bb.229:                              ;   in Loop: Header=BB6_3 Depth=1
	s_andn2_saveexec_b64 s[24:25], s[0:1]
; %bb.230:                              ;   in Loop: Header=BB6_3 Depth=1
	v_or_b32_e32 v64, 0x10000, v66
	v_cmp_eq_u32_sdwa s[0:1], v66, v32 src0_sel:WORD_0 src1_sel:DWORD
	v_cndmask_b32_e64 v64, v64, v66, s[0:1]
; %bb.231:                              ;   in Loop: Header=BB6_3 Depth=1
	s_or_b64 exec, exec, s[24:25]
	v_and_b32_e32 v65, 0xffff0000, v65
	v_add_f32_e32 v66, 0xc3080000, v65
	v_and_b32_e32 v65, 0x7f800000, v66
	v_cmp_ne_u32_e64 s[0:1], s6, v65
                                        ; implicit-def: $vgpr65
	s_and_saveexec_b64 s[24:25], s[0:1]
	s_xor_b64 s[0:1], exec, s[24:25]
; %bb.232:                              ;   in Loop: Header=BB6_3 Depth=1
	v_bfe_u32 v65, v66, 16, 1
	v_add3_u32 v65, v66, v65, s27
                                        ; implicit-def: $vgpr66
; %bb.233:                              ;   in Loop: Header=BB6_3 Depth=1
	s_andn2_saveexec_b64 s[24:25], s[0:1]
; %bb.234:                              ;   in Loop: Header=BB6_3 Depth=1
	v_or_b32_e32 v65, 0x10000, v66
	v_cmp_eq_u32_sdwa s[0:1], v66, v32 src0_sel:WORD_0 src1_sel:DWORD
	v_cndmask_b32_e64 v65, v65, v66, s[0:1]
; %bb.235:                              ;   in Loop: Header=BB6_3 Depth=1
	s_or_b64 exec, exec, s[24:25]
	v_and_b32_e32 v42, 0xffff0000, v42
	v_fma_f32 v66, v42, v35, v22
	v_and_b32_e32 v42, 0x7f800000, v66
	v_cmp_ne_u32_e64 s[0:1], s6, v42
                                        ; implicit-def: $vgpr42
	s_and_saveexec_b64 s[24:25], s[0:1]
	s_xor_b64 s[0:1], exec, s[24:25]
; %bb.236:                              ;   in Loop: Header=BB6_3 Depth=1
	v_bfe_u32 v42, v66, 16, 1
	v_add3_u32 v42, v66, v42, s27
                                        ; implicit-def: $vgpr66
; %bb.237:                              ;   in Loop: Header=BB6_3 Depth=1
	s_andn2_saveexec_b64 s[24:25], s[0:1]
; %bb.238:                              ;   in Loop: Header=BB6_3 Depth=1
	v_or_b32_e32 v42, 0x10000, v66
	v_cmp_eq_u32_sdwa s[0:1], v66, v32 src0_sel:WORD_0 src1_sel:DWORD
	v_cndmask_b32_e64 v42, v42, v66, s[0:1]
; %bb.239:                              ;   in Loop: Header=BB6_3 Depth=1
	s_or_b64 exec, exec, s[24:25]
	v_and_b32_e32 v59, 0xffff0000, v59
	v_fma_f32 v66, v59, v35, v22
	v_and_b32_e32 v59, 0x7f800000, v66
	v_cmp_ne_u32_e64 s[0:1], s6, v59
                                        ; implicit-def: $vgpr59
	s_and_saveexec_b64 s[24:25], s[0:1]
	s_xor_b64 s[0:1], exec, s[24:25]
; %bb.240:                              ;   in Loop: Header=BB6_3 Depth=1
	v_bfe_u32 v59, v66, 16, 1
	v_add3_u32 v59, v66, v59, s27
                                        ; implicit-def: $vgpr66
; %bb.241:                              ;   in Loop: Header=BB6_3 Depth=1
	s_andn2_saveexec_b64 s[24:25], s[0:1]
; %bb.242:                              ;   in Loop: Header=BB6_3 Depth=1
	v_or_b32_e32 v59, 0x10000, v66
	v_cmp_eq_u32_sdwa s[0:1], v66, v32 src0_sel:WORD_0 src1_sel:DWORD
	v_cndmask_b32_e64 v59, v59, v66, s[0:1]
; %bb.243:                              ;   in Loop: Header=BB6_3 Depth=1
	s_or_b64 exec, exec, s[24:25]
	v_and_b32_e32 v60, 0xffff0000, v60
	v_fma_f32 v66, v60, v35, v22
	v_and_b32_e32 v60, 0x7f800000, v66
	v_cmp_ne_u32_e64 s[0:1], s6, v60
                                        ; implicit-def: $vgpr60
	s_and_saveexec_b64 s[24:25], s[0:1]
	s_xor_b64 s[0:1], exec, s[24:25]
; %bb.244:                              ;   in Loop: Header=BB6_3 Depth=1
	v_bfe_u32 v60, v66, 16, 1
	v_add3_u32 v60, v66, v60, s27
                                        ; implicit-def: $vgpr66
; %bb.245:                              ;   in Loop: Header=BB6_3 Depth=1
	s_andn2_saveexec_b64 s[24:25], s[0:1]
; %bb.246:                              ;   in Loop: Header=BB6_3 Depth=1
	v_or_b32_e32 v60, 0x10000, v66
	v_cmp_eq_u32_sdwa s[0:1], v66, v32 src0_sel:WORD_0 src1_sel:DWORD
	v_cndmask_b32_e64 v60, v60, v66, s[0:1]
; %bb.247:                              ;   in Loop: Header=BB6_3 Depth=1
	s_or_b64 exec, exec, s[24:25]
	v_and_b32_e32 v61, 0xffff0000, v61
	v_fma_f32 v66, v61, v35, v22
	v_and_b32_e32 v61, 0x7f800000, v66
	v_cmp_ne_u32_e64 s[0:1], s6, v61
                                        ; implicit-def: $vgpr61
	s_and_saveexec_b64 s[24:25], s[0:1]
	s_xor_b64 s[0:1], exec, s[24:25]
; %bb.248:                              ;   in Loop: Header=BB6_3 Depth=1
	v_bfe_u32 v61, v66, 16, 1
	v_add3_u32 v61, v66, v61, s27
                                        ; implicit-def: $vgpr66
; %bb.249:                              ;   in Loop: Header=BB6_3 Depth=1
	s_andn2_saveexec_b64 s[24:25], s[0:1]
; %bb.250:                              ;   in Loop: Header=BB6_3 Depth=1
	v_or_b32_e32 v61, 0x10000, v66
	v_cmp_eq_u32_sdwa s[0:1], v66, v32 src0_sel:WORD_0 src1_sel:DWORD
	v_cndmask_b32_e64 v61, v61, v66, s[0:1]
; %bb.251:                              ;   in Loop: Header=BB6_3 Depth=1
	s_or_b64 exec, exec, s[24:25]
	v_and_b32_e32 v62, 0xffff0000, v62
	v_fma_f32 v66, v62, v35, v22
	v_and_b32_e32 v62, 0x7f800000, v66
	v_cmp_ne_u32_e64 s[0:1], s6, v62
                                        ; implicit-def: $vgpr62
	s_and_saveexec_b64 s[24:25], s[0:1]
	s_xor_b64 s[0:1], exec, s[24:25]
; %bb.252:                              ;   in Loop: Header=BB6_3 Depth=1
	v_bfe_u32 v62, v66, 16, 1
	v_add3_u32 v62, v66, v62, s27
                                        ; implicit-def: $vgpr66
; %bb.253:                              ;   in Loop: Header=BB6_3 Depth=1
	s_andn2_saveexec_b64 s[24:25], s[0:1]
; %bb.254:                              ;   in Loop: Header=BB6_3 Depth=1
	v_or_b32_e32 v62, 0x10000, v66
	v_cmp_eq_u32_sdwa s[0:1], v66, v32 src0_sel:WORD_0 src1_sel:DWORD
	v_cndmask_b32_e64 v62, v62, v66, s[0:1]
; %bb.255:                              ;   in Loop: Header=BB6_3 Depth=1
	s_or_b64 exec, exec, s[24:25]
	v_and_b32_e32 v63, 0xffff0000, v63
	v_fma_f32 v66, v63, v35, v22
	v_and_b32_e32 v63, 0x7f800000, v66
	v_cmp_ne_u32_e64 s[0:1], s6, v63
                                        ; implicit-def: $vgpr63
	s_and_saveexec_b64 s[24:25], s[0:1]
	s_xor_b64 s[0:1], exec, s[24:25]
; %bb.256:                              ;   in Loop: Header=BB6_3 Depth=1
	v_bfe_u32 v63, v66, 16, 1
	v_add3_u32 v63, v66, v63, s27
                                        ; implicit-def: $vgpr66
; %bb.257:                              ;   in Loop: Header=BB6_3 Depth=1
	s_andn2_saveexec_b64 s[24:25], s[0:1]
; %bb.258:                              ;   in Loop: Header=BB6_3 Depth=1
	v_or_b32_e32 v63, 0x10000, v66
	v_cmp_eq_u32_sdwa s[0:1], v66, v32 src0_sel:WORD_0 src1_sel:DWORD
	v_cndmask_b32_e64 v63, v63, v66, s[0:1]
; %bb.259:                              ;   in Loop: Header=BB6_3 Depth=1
	s_or_b64 exec, exec, s[24:25]
	v_and_b32_e32 v64, 0xffff0000, v64
	v_fma_f32 v66, v64, v35, v22
	v_and_b32_e32 v64, 0x7f800000, v66
	v_cmp_ne_u32_e64 s[0:1], s6, v64
                                        ; implicit-def: $vgpr64
	s_and_saveexec_b64 s[24:25], s[0:1]
	s_xor_b64 s[0:1], exec, s[24:25]
; %bb.260:                              ;   in Loop: Header=BB6_3 Depth=1
	v_bfe_u32 v64, v66, 16, 1
	v_add3_u32 v64, v66, v64, s27
                                        ; implicit-def: $vgpr66
; %bb.261:                              ;   in Loop: Header=BB6_3 Depth=1
	s_andn2_saveexec_b64 s[24:25], s[0:1]
; %bb.262:                              ;   in Loop: Header=BB6_3 Depth=1
	v_or_b32_e32 v64, 0x10000, v66
	v_cmp_eq_u32_sdwa s[0:1], v66, v32 src0_sel:WORD_0 src1_sel:DWORD
	v_cndmask_b32_e64 v64, v64, v66, s[0:1]
; %bb.263:                              ;   in Loop: Header=BB6_3 Depth=1
	s_or_b64 exec, exec, s[24:25]
	v_and_b32_e32 v65, 0xffff0000, v65
	v_fmac_f32_e32 v22, v65, v35
	v_and_b32_e32 v35, 0x7f800000, v22
	v_cmp_ne_u32_e64 s[0:1], s6, v35
                                        ; implicit-def: $vgpr35
	s_and_saveexec_b64 s[24:25], s[0:1]
	s_xor_b64 s[0:1], exec, s[24:25]
; %bb.264:                              ;   in Loop: Header=BB6_3 Depth=1
	v_bfe_u32 v35, v22, 16, 1
	v_add3_u32 v35, v22, v35, s27
                                        ; implicit-def: $vgpr22
; %bb.265:                              ;   in Loop: Header=BB6_3 Depth=1
	s_andn2_saveexec_b64 s[24:25], s[0:1]
	s_cbranch_execz .LBB6_2
; %bb.266:                              ;   in Loop: Header=BB6_3 Depth=1
	v_or_b32_e32 v35, 0x10000, v22
	v_cmp_eq_u32_sdwa s[0:1], v22, v32 src0_sel:WORD_0 src1_sel:DWORD
	v_cndmask_b32_e64 v35, v35, v22, s[0:1]
	s_branch .LBB6_2
.LBB6_267:
	s_or_b64 exec, exec, s[10:11]
.LBB6_268:
	s_or_b64 exec, exec, s[4:5]
	v_lshl_add_u32 v8, v24, 1, s9
	v_cmp_gt_u32_e32 vcc, s3, v8
	s_and_saveexec_b64 s[0:1], vcc
	s_cbranch_execz .LBB6_336
; %bb.269:
	v_lshl_or_b32 v9, s8, 4, v25
	v_cmp_gt_i32_e32 vcc, s16, v9
	v_mov_b32_e32 v6, 0
	v_mov_b32_e32 v7, 0
	;; [unrolled: 1-line block ×4, first 2 shown]
	s_and_saveexec_b64 s[4:5], vcc
	s_cbranch_execz .LBB6_271
; %bb.270:
	v_mul_lo_u32 v4, v9, s18
	v_ashrrev_i32_e32 v5, 31, v4
	v_lshlrev_b64 v[4:5], 1, v[4:5]
	v_add_co_u32_e32 v7, vcc, s20, v4
	v_and_b32_e32 v4, 0xfc, v27
	v_mov_b32_e32 v6, s21
	v_lshl_add_u32 v4, v8, 4, v4
	v_addc_co_u32_e32 v6, vcc, v6, v5, vcc
	v_ashrrev_i32_e32 v5, 31, v4
	v_lshlrev_b64 v[4:5], 1, v[4:5]
	v_add_co_u32_e32 v10, vcc, v7, v4
	v_addc_co_u32_e32 v11, vcc, v6, v5, vcc
	global_load_dwordx2 v[6:7], v[10:11], off
	global_load_dwordx2 v[4:5], v[10:11], off offset:32
.LBB6_271:
	s_or_b64 exec, exec, s[4:5]
	s_lshr_b32 s4, s3, 31
	s_add_i32 s3, s3, s4
	s_lshr_b32 s3, s3, 1
	s_mul_i32 s3, s3, s7
	v_lshrrev_b32_e32 v9, 1, v8
	v_add_u32_e32 v9, s3, v9
	v_lshl_add_u32 v10, v9, 6, v26
	v_ashrrev_i32_e32 v11, 31, v10
	v_lshlrev_b64 v[10:11], 2, v[10:11]
	v_mov_b32_e32 v9, s23
	v_add_co_u32_e32 v10, vcc, s22, v10
	v_addc_co_u32_e32 v11, vcc, v9, v11, vcc
	global_load_dword v11, v[10:11], off
	v_ashrrev_i32_e32 v10, 31, v8
	v_lshrrev_b32_e32 v10, 29, v10
	v_add_u32_e32 v8, v8, v10
	v_lshrrev_b32_e32 v8, 3, v8
	v_mul_lo_u32 v8, s2, v8
	v_lshl_or_b32 v9, s7, 4, v25
	v_lshlrev_b32_e32 v8, 4, v8
	v_add_lshl_u32 v8, v9, v8, 1
	v_ashrrev_i32_e32 v9, 31, v8
	v_lshlrev_b64 v[8:9], 1, v[8:9]
	v_mov_b32_e32 v10, s13
	v_add_co_u32_e32 v8, vcc, s12, v8
	v_addc_co_u32_e32 v9, vcc, v10, v9, vcc
	global_load_dword v8, v[8:9], off
	v_mov_b32_e32 v9, 0xf000f
	v_mov_b32_e32 v13, 0x43004300
	s_waitcnt vmcnt(1)
	;;#ASMSTART
	v_and_or_b32 v10, v11, v9, v13
	;;#ASMEND
	s_mov_b32 s2, 0x7f800000
	v_lshrrev_b32_e32 v12, 4, v11
	v_lshrrev_b32_e32 v14, 8, v11
	v_lshrrev_b32_e32 v11, 12, v11
	;;#ASMSTART
	v_and_or_b32 v12, v12, v9, v13
	;;#ASMEND
	;;#ASMSTART
	v_and_or_b32 v14, v14, v9, v13
	;;#ASMEND
	;; [unrolled: 3-line block ×3, first 2 shown]
	v_lshlrev_b32_e32 v9, 16, v10
	v_add_f32_e32 v11, 0xc3080000, v9
	v_and_b32_e32 v9, 0x7f800000, v11
	v_cmp_ne_u32_e32 vcc, s2, v9
                                        ; implicit-def: $vgpr9
	s_and_saveexec_b64 s[2:3], vcc
	s_xor_b64 s[2:3], exec, s[2:3]
; %bb.272:
	v_bfe_u32 v9, v11, 16, 1
	s_movk_i32 s4, 0x7fff
	v_add3_u32 v9, v11, v9, s4
                                        ; implicit-def: $vgpr11
; %bb.273:
	s_andn2_saveexec_b64 s[2:3], s[2:3]
; %bb.274:
	v_mov_b32_e32 v9, 0
	v_or_b32_e32 v13, 0x10000, v11
	v_cmp_eq_u32_sdwa vcc, v11, v9 src0_sel:WORD_0 src1_sel:DWORD
	v_cndmask_b32_e32 v9, v13, v11, vcc
; %bb.275:
	s_or_b64 exec, exec, s[2:3]
	v_and_b32_e32 v10, 0xffff0000, v10
	v_add_f32_e32 v11, 0xc3080000, v10
	s_mov_b32 s2, 0x7f800000
	v_and_b32_e32 v10, 0x7f800000, v11
	v_cmp_ne_u32_e32 vcc, s2, v10
                                        ; implicit-def: $vgpr10
	s_and_saveexec_b64 s[2:3], vcc
	s_xor_b64 s[2:3], exec, s[2:3]
; %bb.276:
	v_bfe_u32 v10, v11, 16, 1
	s_movk_i32 s4, 0x7fff
	v_add3_u32 v10, v11, v10, s4
                                        ; implicit-def: $vgpr11
; %bb.277:
	s_andn2_saveexec_b64 s[2:3], s[2:3]
; %bb.278:
	v_mov_b32_e32 v10, 0
	v_or_b32_e32 v13, 0x10000, v11
	v_cmp_eq_u32_sdwa vcc, v11, v10 src0_sel:WORD_0 src1_sel:DWORD
	v_cndmask_b32_e32 v10, v13, v11, vcc
; %bb.279:
	s_or_b64 exec, exec, s[2:3]
	v_lshlrev_b32_e32 v11, 16, v12
	v_add_f32_e32 v13, 0xc3080000, v11
	s_mov_b32 s2, 0x7f800000
	v_and_b32_e32 v11, 0x7f800000, v13
	v_cmp_ne_u32_e32 vcc, s2, v11
                                        ; implicit-def: $vgpr11
	s_and_saveexec_b64 s[2:3], vcc
	s_xor_b64 s[2:3], exec, s[2:3]
; %bb.280:
	v_bfe_u32 v11, v13, 16, 1
	s_movk_i32 s4, 0x7fff
	v_add3_u32 v11, v13, v11, s4
                                        ; implicit-def: $vgpr13
; %bb.281:
	s_andn2_saveexec_b64 s[2:3], s[2:3]
; %bb.282:
	v_mov_b32_e32 v11, 0
	v_or_b32_e32 v15, 0x10000, v13
	v_cmp_eq_u32_sdwa vcc, v13, v11 src0_sel:WORD_0 src1_sel:DWORD
	v_cndmask_b32_e32 v11, v15, v13, vcc
; %bb.283:
	s_or_b64 exec, exec, s[2:3]
	v_and_b32_e32 v12, 0xffff0000, v12
	v_add_f32_e32 v13, 0xc3080000, v12
	s_mov_b32 s2, 0x7f800000
	v_and_b32_e32 v12, 0x7f800000, v13
	v_cmp_ne_u32_e32 vcc, s2, v12
                                        ; implicit-def: $vgpr12
	s_and_saveexec_b64 s[2:3], vcc
	s_xor_b64 s[2:3], exec, s[2:3]
; %bb.284:
	v_bfe_u32 v12, v13, 16, 1
	s_movk_i32 s4, 0x7fff
	v_add3_u32 v12, v13, v12, s4
                                        ; implicit-def: $vgpr13
; %bb.285:
	s_andn2_saveexec_b64 s[2:3], s[2:3]
; %bb.286:
	v_mov_b32_e32 v12, 0
	v_or_b32_e32 v15, 0x10000, v13
	v_cmp_eq_u32_sdwa vcc, v13, v12 src0_sel:WORD_0 src1_sel:DWORD
	v_cndmask_b32_e32 v12, v15, v13, vcc
; %bb.287:
	s_or_b64 exec, exec, s[2:3]
	v_lshlrev_b32_e32 v13, 16, v14
	v_add_f32_e32 v15, 0xc3080000, v13
	s_mov_b32 s2, 0x7f800000
	v_and_b32_e32 v13, 0x7f800000, v15
	v_cmp_ne_u32_e32 vcc, s2, v13
                                        ; implicit-def: $vgpr13
	s_and_saveexec_b64 s[2:3], vcc
	s_xor_b64 s[2:3], exec, s[2:3]
; %bb.288:
	v_bfe_u32 v13, v15, 16, 1
	s_movk_i32 s4, 0x7fff
	v_add3_u32 v13, v15, v13, s4
                                        ; implicit-def: $vgpr15
; %bb.289:
	s_andn2_saveexec_b64 s[2:3], s[2:3]
; %bb.290:
	v_mov_b32_e32 v13, 0
	v_or_b32_e32 v17, 0x10000, v15
	v_cmp_eq_u32_sdwa vcc, v15, v13 src0_sel:WORD_0 src1_sel:DWORD
	v_cndmask_b32_e32 v13, v17, v15, vcc
; %bb.291:
	s_or_b64 exec, exec, s[2:3]
	v_and_b32_e32 v14, 0xffff0000, v14
	v_add_f32_e32 v15, 0xc3080000, v14
	s_mov_b32 s2, 0x7f800000
	v_and_b32_e32 v14, 0x7f800000, v15
	v_cmp_ne_u32_e32 vcc, s2, v14
                                        ; implicit-def: $vgpr14
	s_and_saveexec_b64 s[2:3], vcc
	s_xor_b64 s[2:3], exec, s[2:3]
; %bb.292:
	v_bfe_u32 v14, v15, 16, 1
	s_movk_i32 s4, 0x7fff
	v_add3_u32 v14, v15, v14, s4
                                        ; implicit-def: $vgpr15
; %bb.293:
	s_andn2_saveexec_b64 s[2:3], s[2:3]
; %bb.294:
	v_mov_b32_e32 v14, 0
	v_or_b32_e32 v17, 0x10000, v15
	v_cmp_eq_u32_sdwa vcc, v15, v14 src0_sel:WORD_0 src1_sel:DWORD
	v_cndmask_b32_e32 v14, v17, v15, vcc
; %bb.295:
	s_or_b64 exec, exec, s[2:3]
	v_lshlrev_b32_e32 v15, 16, v16
	v_add_f32_e32 v17, 0xc3080000, v15
	s_mov_b32 s2, 0x7f800000
	v_and_b32_e32 v15, 0x7f800000, v17
	v_cmp_ne_u32_e32 vcc, s2, v15
                                        ; implicit-def: $vgpr15
	s_and_saveexec_b64 s[2:3], vcc
	s_xor_b64 s[2:3], exec, s[2:3]
; %bb.296:
	v_bfe_u32 v15, v17, 16, 1
	s_movk_i32 s4, 0x7fff
	v_add3_u32 v15, v17, v15, s4
                                        ; implicit-def: $vgpr17
; %bb.297:
	s_andn2_saveexec_b64 s[2:3], s[2:3]
; %bb.298:
	v_mov_b32_e32 v15, 0
	v_or_b32_e32 v18, 0x10000, v17
	v_cmp_eq_u32_sdwa vcc, v17, v15 src0_sel:WORD_0 src1_sel:DWORD
	v_cndmask_b32_e32 v15, v18, v17, vcc
; %bb.299:
	s_or_b64 exec, exec, s[2:3]
	v_and_b32_e32 v16, 0xffff0000, v16
	v_add_f32_e32 v17, 0xc3080000, v16
	s_mov_b32 s2, 0x7f800000
	v_and_b32_e32 v16, 0x7f800000, v17
	v_cmp_ne_u32_e32 vcc, s2, v16
                                        ; implicit-def: $vgpr16
	s_and_saveexec_b64 s[2:3], vcc
	s_xor_b64 s[2:3], exec, s[2:3]
; %bb.300:
	v_bfe_u32 v16, v17, 16, 1
	s_movk_i32 s4, 0x7fff
	v_add3_u32 v16, v17, v16, s4
                                        ; implicit-def: $vgpr17
; %bb.301:
	s_andn2_saveexec_b64 s[2:3], s[2:3]
; %bb.302:
	v_mov_b32_e32 v16, 0
	v_or_b32_e32 v18, 0x10000, v17
	v_cmp_eq_u32_sdwa vcc, v17, v16 src0_sel:WORD_0 src1_sel:DWORD
	v_cndmask_b32_e32 v16, v18, v17, vcc
; %bb.303:
	s_or_b64 exec, exec, s[2:3]
	v_and_b32_e32 v9, 0xffff0000, v9
	s_waitcnt vmcnt(0)
	v_lshlrev_b32_e32 v17, 16, v8
	v_and_b32_e32 v8, 0xffff0000, v8
	v_fma_f32 v18, v9, v17, v8
	s_mov_b32 s2, 0x7f800000
	v_and_b32_e32 v9, 0x7f800000, v18
	v_cmp_ne_u32_e32 vcc, s2, v9
                                        ; implicit-def: $vgpr9
	s_and_saveexec_b64 s[2:3], vcc
	s_xor_b64 s[2:3], exec, s[2:3]
; %bb.304:
	v_bfe_u32 v9, v18, 16, 1
	s_movk_i32 s4, 0x7fff
	v_add3_u32 v9, v18, v9, s4
                                        ; implicit-def: $vgpr18
; %bb.305:
	s_andn2_saveexec_b64 s[2:3], s[2:3]
; %bb.306:
	v_mov_b32_e32 v9, 0
	v_or_b32_e32 v19, 0x10000, v18
	v_cmp_eq_u32_sdwa vcc, v18, v9 src0_sel:WORD_0 src1_sel:DWORD
	v_cndmask_b32_e32 v9, v19, v18, vcc
; %bb.307:
	s_or_b64 exec, exec, s[2:3]
	v_and_b32_e32 v10, 0xffff0000, v10
	v_fma_f32 v18, v10, v17, v8
	s_mov_b32 s2, 0x7f800000
	v_and_b32_e32 v10, 0x7f800000, v18
	v_cmp_ne_u32_e32 vcc, s2, v10
                                        ; implicit-def: $vgpr10
	s_and_saveexec_b64 s[2:3], vcc
	s_xor_b64 s[2:3], exec, s[2:3]
; %bb.308:
	v_bfe_u32 v10, v18, 16, 1
	s_movk_i32 s4, 0x7fff
	v_add3_u32 v10, v18, v10, s4
                                        ; implicit-def: $vgpr18
; %bb.309:
	s_andn2_saveexec_b64 s[2:3], s[2:3]
; %bb.310:
	v_mov_b32_e32 v10, 0
	v_or_b32_e32 v19, 0x10000, v18
	v_cmp_eq_u32_sdwa vcc, v18, v10 src0_sel:WORD_0 src1_sel:DWORD
	v_cndmask_b32_e32 v10, v19, v18, vcc
; %bb.311:
	s_or_b64 exec, exec, s[2:3]
	v_and_b32_e32 v11, 0xffff0000, v11
	v_fma_f32 v18, v11, v17, v8
	s_mov_b32 s2, 0x7f800000
	v_and_b32_e32 v11, 0x7f800000, v18
	v_cmp_ne_u32_e32 vcc, s2, v11
                                        ; implicit-def: $vgpr11
	s_and_saveexec_b64 s[2:3], vcc
	s_xor_b64 s[2:3], exec, s[2:3]
; %bb.312:
	v_bfe_u32 v11, v18, 16, 1
	s_movk_i32 s4, 0x7fff
	v_add3_u32 v11, v18, v11, s4
                                        ; implicit-def: $vgpr18
; %bb.313:
	s_andn2_saveexec_b64 s[2:3], s[2:3]
; %bb.314:
	v_mov_b32_e32 v11, 0
	v_or_b32_e32 v19, 0x10000, v18
	v_cmp_eq_u32_sdwa vcc, v18, v11 src0_sel:WORD_0 src1_sel:DWORD
	v_cndmask_b32_e32 v11, v19, v18, vcc
; %bb.315:
	s_or_b64 exec, exec, s[2:3]
	v_and_b32_e32 v12, 0xffff0000, v12
	v_fma_f32 v18, v12, v17, v8
	s_mov_b32 s2, 0x7f800000
	v_and_b32_e32 v12, 0x7f800000, v18
	v_cmp_ne_u32_e32 vcc, s2, v12
                                        ; implicit-def: $vgpr12
	s_and_saveexec_b64 s[2:3], vcc
	s_xor_b64 s[2:3], exec, s[2:3]
; %bb.316:
	v_bfe_u32 v12, v18, 16, 1
	s_movk_i32 s4, 0x7fff
	v_add3_u32 v12, v18, v12, s4
                                        ; implicit-def: $vgpr18
; %bb.317:
	s_andn2_saveexec_b64 s[2:3], s[2:3]
; %bb.318:
	v_mov_b32_e32 v12, 0
	v_or_b32_e32 v19, 0x10000, v18
	v_cmp_eq_u32_sdwa vcc, v18, v12 src0_sel:WORD_0 src1_sel:DWORD
	v_cndmask_b32_e32 v12, v19, v18, vcc
; %bb.319:
	s_or_b64 exec, exec, s[2:3]
	v_and_b32_e32 v13, 0xffff0000, v13
	v_fma_f32 v18, v13, v17, v8
	s_mov_b32 s2, 0x7f800000
	v_and_b32_e32 v13, 0x7f800000, v18
	v_cmp_ne_u32_e32 vcc, s2, v13
                                        ; implicit-def: $vgpr13
	s_and_saveexec_b64 s[2:3], vcc
	s_xor_b64 s[2:3], exec, s[2:3]
; %bb.320:
	v_bfe_u32 v13, v18, 16, 1
	s_movk_i32 s4, 0x7fff
	v_add3_u32 v13, v18, v13, s4
                                        ; implicit-def: $vgpr18
; %bb.321:
	s_andn2_saveexec_b64 s[2:3], s[2:3]
; %bb.322:
	v_mov_b32_e32 v13, 0
	v_or_b32_e32 v19, 0x10000, v18
	v_cmp_eq_u32_sdwa vcc, v18, v13 src0_sel:WORD_0 src1_sel:DWORD
	v_cndmask_b32_e32 v13, v19, v18, vcc
; %bb.323:
	s_or_b64 exec, exec, s[2:3]
	v_and_b32_e32 v14, 0xffff0000, v14
	v_fma_f32 v18, v14, v17, v8
	s_mov_b32 s2, 0x7f800000
	v_and_b32_e32 v14, 0x7f800000, v18
	v_cmp_ne_u32_e32 vcc, s2, v14
                                        ; implicit-def: $vgpr14
	s_and_saveexec_b64 s[2:3], vcc
	s_xor_b64 s[2:3], exec, s[2:3]
; %bb.324:
	v_bfe_u32 v14, v18, 16, 1
	s_movk_i32 s4, 0x7fff
	v_add3_u32 v14, v18, v14, s4
                                        ; implicit-def: $vgpr18
; %bb.325:
	s_andn2_saveexec_b64 s[2:3], s[2:3]
; %bb.326:
	v_mov_b32_e32 v14, 0
	v_or_b32_e32 v19, 0x10000, v18
	v_cmp_eq_u32_sdwa vcc, v18, v14 src0_sel:WORD_0 src1_sel:DWORD
	v_cndmask_b32_e32 v14, v19, v18, vcc
; %bb.327:
	s_or_b64 exec, exec, s[2:3]
	v_and_b32_e32 v15, 0xffff0000, v15
	v_fma_f32 v18, v15, v17, v8
	s_mov_b32 s2, 0x7f800000
	v_and_b32_e32 v15, 0x7f800000, v18
	v_cmp_ne_u32_e32 vcc, s2, v15
                                        ; implicit-def: $vgpr15
	s_and_saveexec_b64 s[2:3], vcc
	s_xor_b64 s[2:3], exec, s[2:3]
; %bb.328:
	v_bfe_u32 v15, v18, 16, 1
	s_movk_i32 s4, 0x7fff
	v_add3_u32 v15, v18, v15, s4
                                        ; implicit-def: $vgpr18
; %bb.329:
	s_andn2_saveexec_b64 s[2:3], s[2:3]
; %bb.330:
	v_mov_b32_e32 v15, 0
	v_or_b32_e32 v19, 0x10000, v18
	v_cmp_eq_u32_sdwa vcc, v18, v15 src0_sel:WORD_0 src1_sel:DWORD
	v_cndmask_b32_e32 v15, v19, v18, vcc
; %bb.331:
	s_or_b64 exec, exec, s[2:3]
	v_and_b32_e32 v16, 0xffff0000, v16
	v_fmac_f32_e32 v8, v16, v17
	s_mov_b32 s2, 0x7f800000
	v_and_b32_e32 v16, 0x7f800000, v8
	v_cmp_ne_u32_e32 vcc, s2, v16
                                        ; implicit-def: $vgpr16
	s_and_saveexec_b64 s[2:3], vcc
	s_xor_b64 s[2:3], exec, s[2:3]
; %bb.332:
	v_bfe_u32 v16, v8, 16, 1
	s_movk_i32 s4, 0x7fff
	v_add3_u32 v16, v8, v16, s4
                                        ; implicit-def: $vgpr8
; %bb.333:
	s_andn2_saveexec_b64 s[2:3], s[2:3]
; %bb.334:
	v_mov_b32_e32 v16, 0
	v_or_b32_e32 v17, 0x10000, v8
	v_cmp_eq_u32_sdwa vcc, v8, v16 src0_sel:WORD_0 src1_sel:DWORD
	v_cndmask_b32_e32 v16, v17, v8, vcc
; %bb.335:
	s_or_b64 exec, exec, s[2:3]
	s_mov_b32 s2, 0x3020706
	v_perm_b32 v11, v11, v12, s2
	v_perm_b32 v10, v9, v10, s2
	s_nop 1
	v_mfma_f32_16x16x16bf16_1k v[6:9], v[6:7], v[10:11], 0
	v_perm_b32 v11, v15, v16, s2
	v_perm_b32 v10, v13, v14, s2
	s_nop 7
	s_nop 0
	v_pk_add_f32 v[8:9], v[2:3], v[8:9]
	v_pk_add_f32 v[6:7], v[0:1], v[6:7]
	v_mfma_f32_16x16x16bf16_1k v[0:3], v[4:5], v[10:11], 0
	s_nop 7
	s_nop 2
	v_pk_add_f32 v[2:3], v[8:9], v[2:3]
	v_pk_add_f32 v[0:1], v[6:7], v[0:1]
.LBB6_336:
	s_or_b64 exec, exec, s[0:1]
	v_lshlrev_b32_e32 v28, 4, v26
	v_lshl_add_u32 v4, v24, 10, v28
	v_cmp_eq_u32_e32 vcc, 0, v24
	ds_write_b128 v4, v[0:3]
	s_waitcnt lgkmcnt(0)
	s_barrier
	s_and_saveexec_b64 s[0:1], vcc
	s_cbranch_execz .LBB6_361
; %bb.337:
	v_add_u32_e32 v0, 12, v28
	v_add_u32_e32 v1, 0x404, v28
	;; [unrolled: 1-line block ×4, first 2 shown]
	ds_read2st64_b32 v[2:3], v0 offset1:4
	ds_read2st64_b32 v[4:5], v0 offset0:8 offset1:12
	ds_read2_b32 v[10:11], v28 offset0:1 offset1:2
	ds_read2_b32 v[12:13], v1 offset1:1
	ds_read2_b32 v[14:15], v6 offset1:1
	;; [unrolled: 1-line block ×3, first 2 shown]
	v_add_u32_e32 v1, 0x1004, v28
	ds_read2st64_b32 v[6:7], v0 offset0:16 offset1:20
	v_add_u32_e32 v20, 0x1404, v28
	v_add_u32_e32 v22, 0x1804, v28
	ds_read2st64_b32 v[8:9], v0 offset0:24 offset1:28
	v_add_u32_e32 v0, 0x1c04, v28
	ds_read2_b32 v[18:19], v1 offset1:1
	ds_read2_b32 v[20:21], v20 offset1:1
	;; [unrolled: 1-line block ×4, first 2 shown]
	v_and_b32_e32 v0, 0xfc, v27
	v_lshl_add_u32 v27, s8, 4, v0
	v_mul_lo_u32 v30, v27, s17
	v_ashrrev_i32_e32 v31, 31, v30
	s_lshl_b32 s0, s7, 4
	v_lshlrev_b64 v[30:31], 1, v[30:31]
	v_and_or_b32 v0, v26, 15, s0
	v_mov_b32_e32 v1, s15
	v_add_co_u32_e32 v26, vcc, s14, v30
	v_addc_co_u32_e32 v29, vcc, v1, v31, vcc
	v_ashrrev_i32_e32 v1, 31, v0
	v_lshlrev_b64 v[0:1], 1, v[0:1]
	v_add_co_u32_e32 v0, vcc, v26, v0
	v_addc_co_u32_e32 v1, vcc, v29, v1, vcc
	v_cmp_gt_i32_e32 vcc, s16, v27
	s_and_saveexec_b64 s[0:1], vcc
	s_cbranch_execz .LBB6_343
; %bb.338:
	ds_read2st64_b32 v[30:31], v28 offset1:4
	ds_read2st64_b32 v[32:33], v28 offset0:8 offset1:12
	ds_read2st64_b32 v[34:35], v28 offset0:16 offset1:20
	;; [unrolled: 1-line block ×3, first 2 shown]
	s_mov_b32 s2, 0x7f800000
	s_waitcnt lgkmcnt(3)
	v_add_f32_e32 v26, 0, v30
	v_add_f32_e32 v26, v26, v31
	s_waitcnt lgkmcnt(2)
	v_add_f32_e32 v26, v26, v32
	v_add_f32_e32 v26, v26, v33
	;; [unrolled: 3-line block ×4, first 2 shown]
	v_and_b32_e32 v28, 0x7f800000, v26
	v_cmp_ne_u32_e32 vcc, s2, v28
                                        ; implicit-def: $vgpr28
	s_and_saveexec_b64 s[2:3], vcc
	s_xor_b64 s[2:3], exec, s[2:3]
; %bb.339:
	v_bfe_u32 v28, v26, 16, 1
	s_movk_i32 s4, 0x7fff
	v_add3_u32 v28, v26, v28, s4
                                        ; implicit-def: $vgpr26
; %bb.340:
	s_andn2_saveexec_b64 s[2:3], s[2:3]
; %bb.341:
	v_mov_b32_e32 v28, 0
	v_or_b32_e32 v29, 0x10000, v26
	v_cmp_eq_u32_sdwa vcc, v26, v28 src0_sel:WORD_0 src1_sel:DWORD
	v_cndmask_b32_e32 v28, v29, v26, vcc
; %bb.342:
	s_or_b64 exec, exec, s[2:3]
	global_store_short_d16_hi v[0:1], v28, off
.LBB6_343:
	s_or_b64 exec, exec, s[0:1]
	v_or_b32_e32 v26, 1, v27
	v_cmp_gt_i32_e32 vcc, s16, v26
	s_and_saveexec_b64 s[0:1], vcc
	s_cbranch_execz .LBB6_349
; %bb.344:
	s_waitcnt lgkmcnt(9)
	v_add_f32_e32 v10, 0, v10
	s_waitcnt lgkmcnt(8)
	v_add_f32_e32 v10, v10, v12
	;; [unrolled: 2-line block ×8, first 2 shown]
	s_mov_b32 s2, 0x7f800000
	v_and_b32_e32 v10, 0x7f800000, v12
	v_cmp_ne_u32_e32 vcc, s2, v10
                                        ; implicit-def: $vgpr10
	s_and_saveexec_b64 s[2:3], vcc
	s_xor_b64 s[2:3], exec, s[2:3]
; %bb.345:
	v_bfe_u32 v10, v12, 16, 1
	s_movk_i32 s4, 0x7fff
	v_add3_u32 v10, v12, v10, s4
                                        ; implicit-def: $vgpr12
; %bb.346:
	s_andn2_saveexec_b64 s[2:3], s[2:3]
; %bb.347:
	v_mov_b32_e32 v10, 0
	v_or_b32_e32 v14, 0x10000, v12
	v_cmp_eq_u32_sdwa vcc, v12, v10 src0_sel:WORD_0 src1_sel:DWORD
	v_cndmask_b32_e32 v10, v14, v12, vcc
; %bb.348:
	s_or_b64 exec, exec, s[2:3]
	s_ashr_i32 s3, s17, 31
	s_mov_b32 s2, s17
	s_lshl_b64 s[2:3], s[2:3], 1
	v_mov_b32_e32 v12, s3
	v_add_co_u32_e32 v28, vcc, s2, v0
	v_addc_co_u32_e32 v29, vcc, v1, v12, vcc
	global_store_short_d16_hi v[28:29], v10, off
.LBB6_349:
	s_or_b64 exec, exec, s[0:1]
	s_waitcnt lgkmcnt(9)
	v_or_b32_e32 v10, 2, v27
	v_cmp_gt_i32_e32 vcc, s16, v10
	s_and_saveexec_b64 s[0:1], vcc
	s_cbranch_execz .LBB6_355
; %bb.350:
	v_add_f32_e32 v10, 0, v11
	s_waitcnt lgkmcnt(8)
	v_add_f32_e32 v10, v10, v13
	s_waitcnt lgkmcnt(7)
	;; [unrolled: 2-line block ×7, first 2 shown]
	v_add_f32_e32 v11, v10, v25
	s_mov_b32 s2, 0x7f800000
	v_and_b32_e32 v10, 0x7f800000, v11
	v_cmp_ne_u32_e32 vcc, s2, v10
                                        ; implicit-def: $vgpr10
	s_and_saveexec_b64 s[2:3], vcc
	s_xor_b64 s[2:3], exec, s[2:3]
; %bb.351:
	v_bfe_u32 v10, v11, 16, 1
	s_movk_i32 s4, 0x7fff
	v_add3_u32 v10, v11, v10, s4
                                        ; implicit-def: $vgpr11
; %bb.352:
	s_andn2_saveexec_b64 s[2:3], s[2:3]
; %bb.353:
	v_mov_b32_e32 v10, 0
	v_or_b32_e32 v12, 0x10000, v11
	v_cmp_eq_u32_sdwa vcc, v11, v10 src0_sel:WORD_0 src1_sel:DWORD
	v_cndmask_b32_e32 v10, v12, v11, vcc
; %bb.354:
	s_or_b64 exec, exec, s[2:3]
	s_lshl_b32 s2, s17, 1
	s_ashr_i32 s3, s2, 31
	s_lshl_b64 s[2:3], s[2:3], 1
	v_mov_b32_e32 v11, s3
	v_add_co_u32_e32 v12, vcc, s2, v0
	v_addc_co_u32_e32 v13, vcc, v1, v11, vcc
	global_store_short_d16_hi v[12:13], v10, off
.LBB6_355:
	s_or_b64 exec, exec, s[0:1]
	v_or_b32_e32 v10, 3, v27
	v_cmp_gt_i32_e32 vcc, s16, v10
	s_and_b64 exec, exec, vcc
	s_cbranch_execz .LBB6_361
; %bb.356:
	v_add_f32_e32 v2, 0, v2
	v_add_f32_e32 v2, v2, v3
	;; [unrolled: 1-line block ×4, first 2 shown]
	s_waitcnt lgkmcnt(5)
	v_add_f32_e32 v2, v2, v6
	v_add_f32_e32 v2, v2, v7
	s_waitcnt lgkmcnt(4)
	v_add_f32_e32 v2, v2, v8
	v_add_f32_e32 v3, v2, v9
	s_mov_b32 s0, 0x7f800000
	v_and_b32_e32 v2, 0x7f800000, v3
	v_cmp_ne_u32_e32 vcc, s0, v2
                                        ; implicit-def: $vgpr2
	s_and_saveexec_b64 s[0:1], vcc
	s_xor_b64 s[0:1], exec, s[0:1]
; %bb.357:
	v_bfe_u32 v2, v3, 16, 1
	s_movk_i32 s2, 0x7fff
	v_add3_u32 v2, v3, v2, s2
                                        ; implicit-def: $vgpr3
; %bb.358:
	s_andn2_saveexec_b64 s[0:1], s[0:1]
; %bb.359:
	v_mov_b32_e32 v2, 0
	v_or_b32_e32 v4, 0x10000, v3
	v_cmp_eq_u32_sdwa vcc, v3, v2 src0_sel:WORD_0 src1_sel:DWORD
	v_cndmask_b32_e32 v2, v4, v3, vcc
; %bb.360:
	s_or_b64 exec, exec, s[0:1]
	s_mul_i32 s0, s17, 3
	s_ashr_i32 s1, s0, 31
	s_lshl_b64 s[0:1], s[0:1], 1
	v_mov_b32_e32 v3, s1
	v_add_co_u32_e32 v0, vcc, s0, v0
	v_addc_co_u32_e32 v1, vcc, v1, v3, vcc
	global_store_short_d16_hi v[0:1], v2, off
.LBB6_361:
	s_endpgm
	.section	.rodata,"a",@progbits
	.p2align	6, 0x0
	.amdhsa_kernel _ZN2at6native30tinygemm_m16n8k16_chunk_kernelINS0_10ALayout_RMILNS0_14KReductionTypeE0EEENS0_15BLayout_TC_int4ILi2ELi128EEES4_Li8ELi8EEEvPKvS8_S8_Pviiiiii
		.amdhsa_group_segment_fixed_size 8192
		.amdhsa_private_segment_fixed_size 0
		.amdhsa_kernarg_size 56
		.amdhsa_user_sgpr_count 6
		.amdhsa_user_sgpr_private_segment_buffer 1
		.amdhsa_user_sgpr_dispatch_ptr 0
		.amdhsa_user_sgpr_queue_ptr 0
		.amdhsa_user_sgpr_kernarg_segment_ptr 1
		.amdhsa_user_sgpr_dispatch_id 0
		.amdhsa_user_sgpr_flat_scratch_init 0
		.amdhsa_user_sgpr_kernarg_preload_length 0
		.amdhsa_user_sgpr_kernarg_preload_offset 0
		.amdhsa_user_sgpr_private_segment_size 0
		.amdhsa_uses_dynamic_stack 0
		.amdhsa_system_sgpr_private_segment_wavefront_offset 0
		.amdhsa_system_sgpr_workgroup_id_x 1
		.amdhsa_system_sgpr_workgroup_id_y 1
		.amdhsa_system_sgpr_workgroup_id_z 1
		.amdhsa_system_sgpr_workgroup_info 0
		.amdhsa_system_vgpr_workitem_id 1
		.amdhsa_next_free_vgpr 70
		.amdhsa_next_free_sgpr 29
		.amdhsa_accum_offset 72
		.amdhsa_reserve_vcc 1
		.amdhsa_reserve_flat_scratch 0
		.amdhsa_float_round_mode_32 0
		.amdhsa_float_round_mode_16_64 0
		.amdhsa_float_denorm_mode_32 3
		.amdhsa_float_denorm_mode_16_64 3
		.amdhsa_dx10_clamp 1
		.amdhsa_ieee_mode 1
		.amdhsa_fp16_overflow 0
		.amdhsa_tg_split 0
		.amdhsa_exception_fp_ieee_invalid_op 0
		.amdhsa_exception_fp_denorm_src 0
		.amdhsa_exception_fp_ieee_div_zero 0
		.amdhsa_exception_fp_ieee_overflow 0
		.amdhsa_exception_fp_ieee_underflow 0
		.amdhsa_exception_fp_ieee_inexact 0
		.amdhsa_exception_int_div_zero 0
	.end_amdhsa_kernel
	.section	.text._ZN2at6native30tinygemm_m16n8k16_chunk_kernelINS0_10ALayout_RMILNS0_14KReductionTypeE0EEENS0_15BLayout_TC_int4ILi2ELi128EEES4_Li8ELi8EEEvPKvS8_S8_Pviiiiii,"axG",@progbits,_ZN2at6native30tinygemm_m16n8k16_chunk_kernelINS0_10ALayout_RMILNS0_14KReductionTypeE0EEENS0_15BLayout_TC_int4ILi2ELi128EEES4_Li8ELi8EEEvPKvS8_S8_Pviiiiii,comdat
.Lfunc_end6:
	.size	_ZN2at6native30tinygemm_m16n8k16_chunk_kernelINS0_10ALayout_RMILNS0_14KReductionTypeE0EEENS0_15BLayout_TC_int4ILi2ELi128EEES4_Li8ELi8EEEvPKvS8_S8_Pviiiiii, .Lfunc_end6-_ZN2at6native30tinygemm_m16n8k16_chunk_kernelINS0_10ALayout_RMILNS0_14KReductionTypeE0EEENS0_15BLayout_TC_int4ILi2ELi128EEES4_Li8ELi8EEEvPKvS8_S8_Pviiiiii
                                        ; -- End function
	.section	.AMDGPU.csdata,"",@progbits
; Kernel info:
; codeLenInByte = 9804
; NumSgprs: 33
; NumVgprs: 70
; NumAgprs: 0
; TotalNumVgprs: 70
; ScratchSize: 0
; MemoryBound: 0
; FloatMode: 240
; IeeeMode: 1
; LDSByteSize: 8192 bytes/workgroup (compile time only)
; SGPRBlocks: 4
; VGPRBlocks: 8
; NumSGPRsForWavesPerEU: 33
; NumVGPRsForWavesPerEU: 70
; AccumOffset: 72
; Occupancy: 7
; WaveLimiterHint : 1
; COMPUTE_PGM_RSRC2:SCRATCH_EN: 0
; COMPUTE_PGM_RSRC2:USER_SGPR: 6
; COMPUTE_PGM_RSRC2:TRAP_HANDLER: 0
; COMPUTE_PGM_RSRC2:TGID_X_EN: 1
; COMPUTE_PGM_RSRC2:TGID_Y_EN: 1
; COMPUTE_PGM_RSRC2:TGID_Z_EN: 1
; COMPUTE_PGM_RSRC2:TIDIG_COMP_CNT: 1
; COMPUTE_PGM_RSRC3_GFX90A:ACCUM_OFFSET: 17
; COMPUTE_PGM_RSRC3_GFX90A:TG_SPLIT: 0
	.section	.text._ZN2at6native30tinygemm_m16n8k16_chunk_kernelINS0_10ALayout_RMILNS0_14KReductionTypeE0EEENS0_15BLayout_TC_int4ILi4ELi128EEES4_Li8ELi8EEEvPKvS8_S8_Pviiiiii,"axG",@progbits,_ZN2at6native30tinygemm_m16n8k16_chunk_kernelINS0_10ALayout_RMILNS0_14KReductionTypeE0EEENS0_15BLayout_TC_int4ILi4ELi128EEES4_Li8ELi8EEEvPKvS8_S8_Pviiiiii,comdat
	.protected	_ZN2at6native30tinygemm_m16n8k16_chunk_kernelINS0_10ALayout_RMILNS0_14KReductionTypeE0EEENS0_15BLayout_TC_int4ILi4ELi128EEES4_Li8ELi8EEEvPKvS8_S8_Pviiiiii ; -- Begin function _ZN2at6native30tinygemm_m16n8k16_chunk_kernelINS0_10ALayout_RMILNS0_14KReductionTypeE0EEENS0_15BLayout_TC_int4ILi4ELi128EEES4_Li8ELi8EEEvPKvS8_S8_Pviiiiii
	.globl	_ZN2at6native30tinygemm_m16n8k16_chunk_kernelINS0_10ALayout_RMILNS0_14KReductionTypeE0EEENS0_15BLayout_TC_int4ILi4ELi128EEES4_Li8ELi8EEEvPKvS8_S8_Pviiiiii
	.p2align	8
	.type	_ZN2at6native30tinygemm_m16n8k16_chunk_kernelINS0_10ALayout_RMILNS0_14KReductionTypeE0EEENS0_15BLayout_TC_int4ILi4ELi128EEES4_Li8ELi8EEEvPKvS8_S8_Pviiiiii,@function
_ZN2at6native30tinygemm_m16n8k16_chunk_kernelINS0_10ALayout_RMILNS0_14KReductionTypeE0EEENS0_15BLayout_TC_int4ILi4ELi128EEES4_Li8ELi8EEEvPKvS8_S8_Pviiiiii: ; @_ZN2at6native30tinygemm_m16n8k16_chunk_kernelINS0_10ALayout_RMILNS0_14KReductionTypeE0EEENS0_15BLayout_TC_int4ILi4ELi128EEES4_Li8ELi8EEEvPKvS8_S8_Pviiiiii
; %bb.0:
	s_load_dwordx2 s[2:3], s[4:5], 0x30
	s_load_dwordx4 s[20:23], s[4:5], 0x0
	s_load_dwordx8 s[12:19], s[4:5], 0x10
	v_bfe_u32 v28, v0, 10, 10
	s_mov_b32 s24, 0
	s_waitcnt lgkmcnt(0)
	s_ashr_i32 s9, s3, 31
	s_lshr_b32 s0, s9, 29
	v_and_b32_e32 v26, 0x3ff, v0
	s_add_i32 s0, s3, s0
	v_lshlrev_b32_e32 v0, 3, v28
	s_mov_b32 s25, s24
	s_and_b32 s19, s0, -8
	v_lshl_add_u32 v31, s6, 6, v0
	s_mov_b32 s26, s24
	s_mov_b32 s27, s24
	v_pk_mov_b32 v[0:1], s[24:25], s[24:25] op_sel:[0,1]
	v_cmp_gt_i32_e32 vcc, s19, v31
	v_pk_mov_b32 v[2:3], s[26:27], s[26:27] op_sel:[0,1]
	v_and_b32_e32 v29, 15, v26
	v_lshrrev_b32_e32 v27, 2, v26
	v_lshlrev_b32_e32 v30, 1, v26
	s_and_saveexec_b64 s[4:5], vcc
	s_cbranch_execz .LBB7_268
; %bb.1:
	v_lshl_or_b32 v2, s8, 4, v29
	v_mul_lo_u32 v0, v2, s18
	v_ashrrev_i32_e32 v1, 31, v0
	v_lshlrev_b64 v[0:1], 1, v[0:1]
	s_lshr_b32 s0, s9, 30
	v_mov_b32_e32 v4, s21
	v_add_co_u32_e32 v32, vcc, s20, v0
	s_add_i32 s0, s3, s0
	v_and_b32_e32 v3, 0xfc, v27
	v_addc_co_u32_e32 v33, vcc, v4, v1, vcc
	s_ashr_i32 s26, s0, 2
	s_lshl_b32 s0, s6, 10
	v_lshlrev_b32_e32 v0, 7, v28
	v_mov_b32_e32 v35, 0
	v_cmp_gt_i32_e32 vcc, s16, v2
	s_mul_i32 s26, s26, s7
	v_lshl_or_b32 v34, s7, 4, v29
	s_lshl_b32 s27, s2, 4
	v_add3_u32 v4, s0, v0, v3
	s_mov_b64 s[10:11], 0
	v_mov_b32_e32 v36, 0xf000f
	v_mov_b32_e32 v37, 0x43004300
	s_mov_b32 s6, 0x7f800000
	s_movk_i32 s28, 0x7fff
	s_mov_b32 s29, 0x3020706
	v_mov_b32_e32 v0, 0
	v_mov_b32_e32 v1, v35
	;; [unrolled: 1-line block ×4, first 2 shown]
	s_branch .LBB7_3
.LBB7_2:                                ;   in Loop: Header=BB7_3 Depth=1
	s_or_b64 exec, exec, s[24:25]
	v_perm_b32 v41, v40, v41, s29
	v_perm_b32 v40, v5, v38, s29
	;; [unrolled: 1-line block ×4, first 2 shown]
	v_mfma_f32_16x16x16bf16_1k v[66:69], v[8:9], v[40:41], 0
	v_perm_b32 v9, v44, v45, s29
	v_perm_b32 v8, v42, v43, s29
	;; [unrolled: 1-line block ×6, first 2 shown]
	v_add_u32_e32 v31, 64, v31
	v_mfma_f32_16x16x16bf16_1k v[6:9], v[6:7], v[8:9], 0
	s_nop 2
	v_pk_add_f32 v[2:3], v[2:3], v[68:69]
	v_pk_add_f32 v[0:1], v[0:1], v[66:67]
	v_cmp_le_i32_e64 s[0:1], s19, v31
	s_or_b64 s[10:11], s[0:1], s[10:11]
	v_add_u32_e32 v4, 0x400, v4
	s_nop 2
	v_pk_add_f32 v[2:3], v[2:3], v[8:9]
	v_mfma_f32_16x16x16bf16_1k v[40:43], v[16:17], v[40:41], 0
	v_perm_b32 v17, v51, v52, s29
	v_perm_b32 v16, v49, v50, s29
	v_pk_add_f32 v[0:1], v[0:1], v[6:7]
	s_nop 0
	v_mfma_f32_16x16x16bf16_1k v[14:17], v[14:15], v[16:17], 0
	s_nop 5
	v_pk_add_f32 v[2:3], v[2:3], v[42:43]
	v_pk_add_f32 v[6:7], v[0:1], v[40:41]
	v_mfma_f32_16x16x16bf16_1k v[44:47], v[10:11], v[24:25], 0
	v_perm_b32 v11, v58, v59, s29
	v_perm_b32 v10, v56, v57, s29
	;; [unrolled: 1-line block ×4, first 2 shown]
	v_pk_add_f32 v[8:9], v[2:3], v[16:17]
	v_pk_add_f32 v[6:7], v[6:7], v[14:15]
	s_nop 4
	v_pk_add_f32 v[8:9], v[8:9], v[46:47]
	v_mfma_f32_16x16x16bf16_1k v[20:23], v[20:21], v[10:11], 0
	v_pk_add_f32 v[6:7], v[6:7], v[44:45]
	v_mfma_f32_16x16x16bf16_1k v[0:3], v[18:19], v[24:25], 0
	s_nop 7
	s_nop 0
	v_pk_add_f32 v[8:9], v[8:9], v[22:23]
	v_pk_add_f32 v[6:7], v[6:7], v[20:21]
	;; [unrolled: 1-line block ×4, first 2 shown]
	v_mfma_f32_16x16x16bf16_1k v[0:3], v[12:13], v[38:39], 0
	s_nop 7
	s_nop 2
	v_pk_add_f32 v[2:3], v[8:9], v[2:3]
	v_pk_add_f32 v[0:1], v[6:7], v[0:1]
	s_andn2_b64 exec, exec, s[10:11]
	s_cbranch_execz .LBB7_267
.LBB7_3:                                ; =>This Inner Loop Header: Depth=1
	v_ashrrev_i32_e32 v5, 31, v4
	v_lshlrev_b64 v[6:7], 1, v[4:5]
	v_add_co_u32_e64 v22, s[0:1], v32, v6
	v_addc_co_u32_e64 v23, s[0:1], v33, v7, s[0:1]
	v_mov_b32_e32 v8, 0
	v_mov_b32_e32 v9, 0
	;; [unrolled: 1-line block ×4, first 2 shown]
	s_and_saveexec_b64 s[0:1], vcc
	s_cbranch_execz .LBB7_5
; %bb.4:                                ;   in Loop: Header=BB7_3 Depth=1
	global_load_dwordx2 v[8:9], v[22:23], off
	global_load_dwordx2 v[6:7], v[22:23], off offset:32
.LBB7_5:                                ;   in Loop: Header=BB7_3 Depth=1
	s_or_b64 exec, exec, s[0:1]
	v_mov_b32_e32 v10, 0
	v_mov_b32_e32 v16, 0
	;; [unrolled: 1-line block ×5, first 2 shown]
	s_and_saveexec_b64 s[0:1], vcc
	s_cbranch_execz .LBB7_7
; %bb.6:                                ;   in Loop: Header=BB7_3 Depth=1
	global_load_dwordx2 v[16:17], v[22:23], off offset:64
	global_load_dwordx2 v[14:15], v[22:23], off offset:96
.LBB7_7:                                ;   in Loop: Header=BB7_3 Depth=1
	s_or_b64 exec, exec, s[0:1]
	v_mov_b32_e32 v11, 0
	v_mov_b32_e32 v20, 0
	v_mov_b32_e32 v21, 0
	s_and_saveexec_b64 s[0:1], vcc
	s_cbranch_execz .LBB7_9
; %bb.8:                                ;   in Loop: Header=BB7_3 Depth=1
	global_load_dwordx2 v[10:11], v[22:23], off offset:128
	global_load_dwordx2 v[20:21], v[22:23], off offset:160
.LBB7_9:                                ;   in Loop: Header=BB7_3 Depth=1
	s_or_b64 exec, exec, s[0:1]
	v_mov_b32_e32 v18, 0
	v_mov_b32_e32 v19, 0
	;; [unrolled: 1-line block ×4, first 2 shown]
	s_and_saveexec_b64 s[0:1], vcc
	s_cbranch_execz .LBB7_11
; %bb.10:                               ;   in Loop: Header=BB7_3 Depth=1
	global_load_dwordx2 v[18:19], v[22:23], off offset:192
	global_load_dwordx2 v[12:13], v[22:23], off offset:224
.LBB7_11:                               ;   in Loop: Header=BB7_3 Depth=1
	s_or_b64 exec, exec, s[0:1]
	v_lshrrev_b32_e32 v5, 2, v31
	v_add_u32_e32 v5, s26, v5
	v_lshl_add_u32 v22, v5, 7, v30
	v_ashrrev_i32_e32 v23, 31, v22
	v_lshlrev_b64 v[22:23], 2, v[22:23]
	v_mov_b32_e32 v5, s23
	v_add_co_u32_e64 v38, s[0:1], s22, v22
	v_addc_co_u32_e64 v39, s[0:1], v5, v23, s[0:1]
	v_ashrrev_i32_e32 v5, 3, v31
	v_mul_lo_u32 v5, s27, v5
	global_load_dwordx2 v[24:25], v[38:39], off
	global_load_dwordx2 v[22:23], v[38:39], off offset:512
	v_add_lshl_u32 v38, v34, v5, 1
	v_ashrrev_i32_e32 v39, 31, v38
	v_lshlrev_b64 v[38:39], 1, v[38:39]
	v_mov_b32_e32 v5, s13
	v_add_co_u32_e64 v38, s[0:1], s12, v38
	v_addc_co_u32_e64 v39, s[0:1], v5, v39, s[0:1]
	global_load_dword v5, v[38:39], off
	s_waitcnt vmcnt(2)
	;;#ASMSTART
	v_and_or_b32 v38, v24, v36, v37
	;;#ASMEND
	v_lshrrev_b32_e32 v39, 4, v24
	v_lshrrev_b32_e32 v40, 8, v24
	;; [unrolled: 1-line block ×3, first 2 shown]
	;;#ASMSTART
	v_and_or_b32 v41, v39, v36, v37
	;;#ASMEND
	;;#ASMSTART
	v_and_or_b32 v43, v40, v36, v37
	;;#ASMEND
	;; [unrolled: 3-line block ×3, first 2 shown]
	v_lshlrev_b32_e32 v24, 16, v38
	v_add_f32_e32 v40, 0xc3080000, v24
	v_and_b32_e32 v24, 0x7f800000, v40
	v_cmp_ne_u32_e64 s[0:1], s6, v24
                                        ; implicit-def: $vgpr24
	s_and_saveexec_b64 s[24:25], s[0:1]
	s_xor_b64 s[0:1], exec, s[24:25]
; %bb.12:                               ;   in Loop: Header=BB7_3 Depth=1
	v_bfe_u32 v24, v40, 16, 1
	v_add3_u32 v24, v40, v24, s28
                                        ; implicit-def: $vgpr40
; %bb.13:                               ;   in Loop: Header=BB7_3 Depth=1
	s_andn2_saveexec_b64 s[24:25], s[0:1]
; %bb.14:                               ;   in Loop: Header=BB7_3 Depth=1
	v_or_b32_e32 v24, 0x10000, v40
	v_cmp_eq_u32_sdwa s[0:1], v40, v35 src0_sel:WORD_0 src1_sel:DWORD
	v_cndmask_b32_e64 v24, v24, v40, s[0:1]
; %bb.15:                               ;   in Loop: Header=BB7_3 Depth=1
	s_or_b64 exec, exec, s[24:25]
	v_and_b32_e32 v38, 0xffff0000, v38
	v_add_f32_e32 v40, 0xc3080000, v38
	v_and_b32_e32 v38, 0x7f800000, v40
	v_cmp_ne_u32_e64 s[0:1], s6, v38
                                        ; implicit-def: $vgpr38
	s_and_saveexec_b64 s[24:25], s[0:1]
	s_xor_b64 s[0:1], exec, s[24:25]
; %bb.16:                               ;   in Loop: Header=BB7_3 Depth=1
	v_bfe_u32 v38, v40, 16, 1
	v_add3_u32 v38, v40, v38, s28
                                        ; implicit-def: $vgpr40
; %bb.17:                               ;   in Loop: Header=BB7_3 Depth=1
	s_andn2_saveexec_b64 s[24:25], s[0:1]
; %bb.18:                               ;   in Loop: Header=BB7_3 Depth=1
	v_or_b32_e32 v38, 0x10000, v40
	v_cmp_eq_u32_sdwa s[0:1], v40, v35 src0_sel:WORD_0 src1_sel:DWORD
	v_cndmask_b32_e64 v38, v38, v40, s[0:1]
; %bb.19:                               ;   in Loop: Header=BB7_3 Depth=1
	s_or_b64 exec, exec, s[24:25]
	v_lshlrev_b32_e32 v40, 16, v41
	v_add_f32_e32 v42, 0xc3080000, v40
	v_and_b32_e32 v40, 0x7f800000, v42
	v_cmp_ne_u32_e64 s[0:1], s6, v40
                                        ; implicit-def: $vgpr40
	s_and_saveexec_b64 s[24:25], s[0:1]
	s_xor_b64 s[0:1], exec, s[24:25]
; %bb.20:                               ;   in Loop: Header=BB7_3 Depth=1
	v_bfe_u32 v40, v42, 16, 1
	v_add3_u32 v40, v42, v40, s28
                                        ; implicit-def: $vgpr42
; %bb.21:                               ;   in Loop: Header=BB7_3 Depth=1
	s_andn2_saveexec_b64 s[24:25], s[0:1]
; %bb.22:                               ;   in Loop: Header=BB7_3 Depth=1
	v_or_b32_e32 v40, 0x10000, v42
	v_cmp_eq_u32_sdwa s[0:1], v42, v35 src0_sel:WORD_0 src1_sel:DWORD
	v_cndmask_b32_e64 v40, v40, v42, s[0:1]
; %bb.23:                               ;   in Loop: Header=BB7_3 Depth=1
	s_or_b64 exec, exec, s[24:25]
	v_and_b32_e32 v41, 0xffff0000, v41
	v_add_f32_e32 v42, 0xc3080000, v41
	v_and_b32_e32 v41, 0x7f800000, v42
	v_cmp_ne_u32_e64 s[0:1], s6, v41
                                        ; implicit-def: $vgpr41
	s_and_saveexec_b64 s[24:25], s[0:1]
	s_xor_b64 s[0:1], exec, s[24:25]
; %bb.24:                               ;   in Loop: Header=BB7_3 Depth=1
	v_bfe_u32 v41, v42, 16, 1
	v_add3_u32 v41, v42, v41, s28
                                        ; implicit-def: $vgpr42
; %bb.25:                               ;   in Loop: Header=BB7_3 Depth=1
	s_andn2_saveexec_b64 s[24:25], s[0:1]
; %bb.26:                               ;   in Loop: Header=BB7_3 Depth=1
	v_or_b32_e32 v41, 0x10000, v42
	v_cmp_eq_u32_sdwa s[0:1], v42, v35 src0_sel:WORD_0 src1_sel:DWORD
	v_cndmask_b32_e64 v41, v41, v42, s[0:1]
; %bb.27:                               ;   in Loop: Header=BB7_3 Depth=1
	s_or_b64 exec, exec, s[24:25]
	v_lshlrev_b32_e32 v42, 16, v43
	v_add_f32_e32 v44, 0xc3080000, v42
	v_and_b32_e32 v42, 0x7f800000, v44
	v_cmp_ne_u32_e64 s[0:1], s6, v42
                                        ; implicit-def: $vgpr42
	s_and_saveexec_b64 s[24:25], s[0:1]
	s_xor_b64 s[0:1], exec, s[24:25]
; %bb.28:                               ;   in Loop: Header=BB7_3 Depth=1
	v_bfe_u32 v42, v44, 16, 1
	v_add3_u32 v42, v44, v42, s28
                                        ; implicit-def: $vgpr44
; %bb.29:                               ;   in Loop: Header=BB7_3 Depth=1
	s_andn2_saveexec_b64 s[24:25], s[0:1]
; %bb.30:                               ;   in Loop: Header=BB7_3 Depth=1
	v_or_b32_e32 v42, 0x10000, v44
	v_cmp_eq_u32_sdwa s[0:1], v44, v35 src0_sel:WORD_0 src1_sel:DWORD
	v_cndmask_b32_e64 v42, v42, v44, s[0:1]
; %bb.31:                               ;   in Loop: Header=BB7_3 Depth=1
	s_or_b64 exec, exec, s[24:25]
	v_and_b32_e32 v43, 0xffff0000, v43
	v_add_f32_e32 v44, 0xc3080000, v43
	v_and_b32_e32 v43, 0x7f800000, v44
	v_cmp_ne_u32_e64 s[0:1], s6, v43
                                        ; implicit-def: $vgpr43
	s_and_saveexec_b64 s[24:25], s[0:1]
	s_xor_b64 s[0:1], exec, s[24:25]
; %bb.32:                               ;   in Loop: Header=BB7_3 Depth=1
	v_bfe_u32 v43, v44, 16, 1
	v_add3_u32 v43, v44, v43, s28
                                        ; implicit-def: $vgpr44
; %bb.33:                               ;   in Loop: Header=BB7_3 Depth=1
	s_andn2_saveexec_b64 s[24:25], s[0:1]
; %bb.34:                               ;   in Loop: Header=BB7_3 Depth=1
	v_or_b32_e32 v43, 0x10000, v44
	v_cmp_eq_u32_sdwa s[0:1], v44, v35 src0_sel:WORD_0 src1_sel:DWORD
	v_cndmask_b32_e64 v43, v43, v44, s[0:1]
; %bb.35:                               ;   in Loop: Header=BB7_3 Depth=1
	s_or_b64 exec, exec, s[24:25]
	v_lshlrev_b32_e32 v44, 16, v39
	v_add_f32_e32 v45, 0xc3080000, v44
	v_and_b32_e32 v44, 0x7f800000, v45
	v_cmp_ne_u32_e64 s[0:1], s6, v44
                                        ; implicit-def: $vgpr44
	s_and_saveexec_b64 s[24:25], s[0:1]
	s_xor_b64 s[0:1], exec, s[24:25]
; %bb.36:                               ;   in Loop: Header=BB7_3 Depth=1
	v_bfe_u32 v44, v45, 16, 1
	v_add3_u32 v44, v45, v44, s28
                                        ; implicit-def: $vgpr45
; %bb.37:                               ;   in Loop: Header=BB7_3 Depth=1
	s_andn2_saveexec_b64 s[24:25], s[0:1]
; %bb.38:                               ;   in Loop: Header=BB7_3 Depth=1
	v_or_b32_e32 v44, 0x10000, v45
	v_cmp_eq_u32_sdwa s[0:1], v45, v35 src0_sel:WORD_0 src1_sel:DWORD
	v_cndmask_b32_e64 v44, v44, v45, s[0:1]
; %bb.39:                               ;   in Loop: Header=BB7_3 Depth=1
	s_or_b64 exec, exec, s[24:25]
	v_and_b32_e32 v39, 0xffff0000, v39
	v_add_f32_e32 v39, 0xc3080000, v39
	v_and_b32_e32 v45, 0x7f800000, v39
	v_cmp_ne_u32_e64 s[0:1], s6, v45
                                        ; implicit-def: $vgpr45
	s_and_saveexec_b64 s[24:25], s[0:1]
	s_xor_b64 s[0:1], exec, s[24:25]
; %bb.40:                               ;   in Loop: Header=BB7_3 Depth=1
	v_bfe_u32 v45, v39, 16, 1
	v_add3_u32 v45, v39, v45, s28
                                        ; implicit-def: $vgpr39
; %bb.41:                               ;   in Loop: Header=BB7_3 Depth=1
	s_andn2_saveexec_b64 s[24:25], s[0:1]
; %bb.42:                               ;   in Loop: Header=BB7_3 Depth=1
	v_or_b32_e32 v45, 0x10000, v39
	v_cmp_eq_u32_sdwa s[0:1], v39, v35 src0_sel:WORD_0 src1_sel:DWORD
	v_cndmask_b32_e64 v45, v45, v39, s[0:1]
; %bb.43:                               ;   in Loop: Header=BB7_3 Depth=1
	s_or_b64 exec, exec, s[24:25]
	v_and_b32_e32 v46, 0xffff0000, v24
	s_waitcnt vmcnt(0)
	v_lshlrev_b32_e32 v39, 16, v5
	v_and_b32_e32 v24, 0xffff0000, v5
	v_fma_f32 v46, v46, v39, v24
	v_and_b32_e32 v5, 0x7f800000, v46
	v_cmp_ne_u32_e64 s[0:1], s6, v5
                                        ; implicit-def: $vgpr5
	s_and_saveexec_b64 s[24:25], s[0:1]
	s_xor_b64 s[0:1], exec, s[24:25]
; %bb.44:                               ;   in Loop: Header=BB7_3 Depth=1
	v_bfe_u32 v5, v46, 16, 1
	v_add3_u32 v5, v46, v5, s28
                                        ; implicit-def: $vgpr46
; %bb.45:                               ;   in Loop: Header=BB7_3 Depth=1
	s_andn2_saveexec_b64 s[24:25], s[0:1]
; %bb.46:                               ;   in Loop: Header=BB7_3 Depth=1
	v_or_b32_e32 v5, 0x10000, v46
	v_cmp_eq_u32_sdwa s[0:1], v46, v35 src0_sel:WORD_0 src1_sel:DWORD
	v_cndmask_b32_e64 v5, v5, v46, s[0:1]
; %bb.47:                               ;   in Loop: Header=BB7_3 Depth=1
	s_or_b64 exec, exec, s[24:25]
	v_and_b32_e32 v38, 0xffff0000, v38
	v_fma_f32 v46, v38, v39, v24
	v_and_b32_e32 v38, 0x7f800000, v46
	v_cmp_ne_u32_e64 s[0:1], s6, v38
                                        ; implicit-def: $vgpr38
	s_and_saveexec_b64 s[24:25], s[0:1]
	s_xor_b64 s[0:1], exec, s[24:25]
; %bb.48:                               ;   in Loop: Header=BB7_3 Depth=1
	v_bfe_u32 v38, v46, 16, 1
	v_add3_u32 v38, v46, v38, s28
                                        ; implicit-def: $vgpr46
; %bb.49:                               ;   in Loop: Header=BB7_3 Depth=1
	s_andn2_saveexec_b64 s[24:25], s[0:1]
; %bb.50:                               ;   in Loop: Header=BB7_3 Depth=1
	v_or_b32_e32 v38, 0x10000, v46
	v_cmp_eq_u32_sdwa s[0:1], v46, v35 src0_sel:WORD_0 src1_sel:DWORD
	v_cndmask_b32_e64 v38, v38, v46, s[0:1]
; %bb.51:                               ;   in Loop: Header=BB7_3 Depth=1
	s_or_b64 exec, exec, s[24:25]
	v_and_b32_e32 v40, 0xffff0000, v40
	v_fma_f32 v46, v40, v39, v24
	v_and_b32_e32 v40, 0x7f800000, v46
	v_cmp_ne_u32_e64 s[0:1], s6, v40
                                        ; implicit-def: $vgpr40
	s_and_saveexec_b64 s[24:25], s[0:1]
	s_xor_b64 s[0:1], exec, s[24:25]
; %bb.52:                               ;   in Loop: Header=BB7_3 Depth=1
	v_bfe_u32 v40, v46, 16, 1
	v_add3_u32 v40, v46, v40, s28
                                        ; implicit-def: $vgpr46
; %bb.53:                               ;   in Loop: Header=BB7_3 Depth=1
	s_andn2_saveexec_b64 s[24:25], s[0:1]
; %bb.54:                               ;   in Loop: Header=BB7_3 Depth=1
	v_or_b32_e32 v40, 0x10000, v46
	v_cmp_eq_u32_sdwa s[0:1], v46, v35 src0_sel:WORD_0 src1_sel:DWORD
	v_cndmask_b32_e64 v40, v40, v46, s[0:1]
; %bb.55:                               ;   in Loop: Header=BB7_3 Depth=1
	s_or_b64 exec, exec, s[24:25]
	v_and_b32_e32 v41, 0xffff0000, v41
	v_fma_f32 v46, v41, v39, v24
	v_and_b32_e32 v41, 0x7f800000, v46
	v_cmp_ne_u32_e64 s[0:1], s6, v41
                                        ; implicit-def: $vgpr41
	s_and_saveexec_b64 s[24:25], s[0:1]
	s_xor_b64 s[0:1], exec, s[24:25]
; %bb.56:                               ;   in Loop: Header=BB7_3 Depth=1
	v_bfe_u32 v41, v46, 16, 1
	v_add3_u32 v41, v46, v41, s28
                                        ; implicit-def: $vgpr46
; %bb.57:                               ;   in Loop: Header=BB7_3 Depth=1
	s_andn2_saveexec_b64 s[24:25], s[0:1]
; %bb.58:                               ;   in Loop: Header=BB7_3 Depth=1
	v_or_b32_e32 v41, 0x10000, v46
	v_cmp_eq_u32_sdwa s[0:1], v46, v35 src0_sel:WORD_0 src1_sel:DWORD
	v_cndmask_b32_e64 v41, v41, v46, s[0:1]
; %bb.59:                               ;   in Loop: Header=BB7_3 Depth=1
	s_or_b64 exec, exec, s[24:25]
	v_and_b32_e32 v42, 0xffff0000, v42
	v_fma_f32 v46, v42, v39, v24
	v_and_b32_e32 v42, 0x7f800000, v46
	v_cmp_ne_u32_e64 s[0:1], s6, v42
                                        ; implicit-def: $vgpr42
	s_and_saveexec_b64 s[24:25], s[0:1]
	s_xor_b64 s[0:1], exec, s[24:25]
; %bb.60:                               ;   in Loop: Header=BB7_3 Depth=1
	v_bfe_u32 v42, v46, 16, 1
	v_add3_u32 v42, v46, v42, s28
                                        ; implicit-def: $vgpr46
; %bb.61:                               ;   in Loop: Header=BB7_3 Depth=1
	s_andn2_saveexec_b64 s[24:25], s[0:1]
; %bb.62:                               ;   in Loop: Header=BB7_3 Depth=1
	v_or_b32_e32 v42, 0x10000, v46
	v_cmp_eq_u32_sdwa s[0:1], v46, v35 src0_sel:WORD_0 src1_sel:DWORD
	v_cndmask_b32_e64 v42, v42, v46, s[0:1]
; %bb.63:                               ;   in Loop: Header=BB7_3 Depth=1
	s_or_b64 exec, exec, s[24:25]
	v_and_b32_e32 v43, 0xffff0000, v43
	v_fma_f32 v46, v43, v39, v24
	v_and_b32_e32 v43, 0x7f800000, v46
	v_cmp_ne_u32_e64 s[0:1], s6, v43
                                        ; implicit-def: $vgpr43
	s_and_saveexec_b64 s[24:25], s[0:1]
	s_xor_b64 s[0:1], exec, s[24:25]
; %bb.64:                               ;   in Loop: Header=BB7_3 Depth=1
	v_bfe_u32 v43, v46, 16, 1
	v_add3_u32 v43, v46, v43, s28
                                        ; implicit-def: $vgpr46
; %bb.65:                               ;   in Loop: Header=BB7_3 Depth=1
	s_andn2_saveexec_b64 s[24:25], s[0:1]
; %bb.66:                               ;   in Loop: Header=BB7_3 Depth=1
	v_or_b32_e32 v43, 0x10000, v46
	v_cmp_eq_u32_sdwa s[0:1], v46, v35 src0_sel:WORD_0 src1_sel:DWORD
	v_cndmask_b32_e64 v43, v43, v46, s[0:1]
; %bb.67:                               ;   in Loop: Header=BB7_3 Depth=1
	s_or_b64 exec, exec, s[24:25]
	v_and_b32_e32 v44, 0xffff0000, v44
	v_fma_f32 v46, v44, v39, v24
	v_and_b32_e32 v44, 0x7f800000, v46
	v_cmp_ne_u32_e64 s[0:1], s6, v44
                                        ; implicit-def: $vgpr44
	s_and_saveexec_b64 s[24:25], s[0:1]
	s_xor_b64 s[0:1], exec, s[24:25]
; %bb.68:                               ;   in Loop: Header=BB7_3 Depth=1
	v_bfe_u32 v44, v46, 16, 1
	v_add3_u32 v44, v46, v44, s28
                                        ; implicit-def: $vgpr46
; %bb.69:                               ;   in Loop: Header=BB7_3 Depth=1
	s_andn2_saveexec_b64 s[24:25], s[0:1]
; %bb.70:                               ;   in Loop: Header=BB7_3 Depth=1
	v_or_b32_e32 v44, 0x10000, v46
	v_cmp_eq_u32_sdwa s[0:1], v46, v35 src0_sel:WORD_0 src1_sel:DWORD
	v_cndmask_b32_e64 v44, v44, v46, s[0:1]
; %bb.71:                               ;   in Loop: Header=BB7_3 Depth=1
	s_or_b64 exec, exec, s[24:25]
	v_and_b32_e32 v45, 0xffff0000, v45
	v_fma_f32 v46, v45, v39, v24
	v_and_b32_e32 v45, 0x7f800000, v46
	v_cmp_ne_u32_e64 s[0:1], s6, v45
                                        ; implicit-def: $vgpr45
	s_and_saveexec_b64 s[24:25], s[0:1]
	s_xor_b64 s[0:1], exec, s[24:25]
; %bb.72:                               ;   in Loop: Header=BB7_3 Depth=1
	v_bfe_u32 v45, v46, 16, 1
	v_add3_u32 v45, v46, v45, s28
                                        ; implicit-def: $vgpr46
; %bb.73:                               ;   in Loop: Header=BB7_3 Depth=1
	s_andn2_saveexec_b64 s[24:25], s[0:1]
; %bb.74:                               ;   in Loop: Header=BB7_3 Depth=1
	v_or_b32_e32 v45, 0x10000, v46
	v_cmp_eq_u32_sdwa s[0:1], v46, v35 src0_sel:WORD_0 src1_sel:DWORD
	v_cndmask_b32_e64 v45, v45, v46, s[0:1]
; %bb.75:                               ;   in Loop: Header=BB7_3 Depth=1
	s_or_b64 exec, exec, s[24:25]
	v_lshrrev_b32_e32 v47, 4, v25
	;;#ASMSTART
	v_and_or_b32 v46, v25, v36, v37
	;;#ASMEND
	;;#ASMSTART
	v_and_or_b32 v48, v47, v36, v37
	;;#ASMEND
	v_lshrrev_b32_e32 v47, 8, v25
	v_lshrrev_b32_e32 v25, 12, v25
	;;#ASMSTART
	v_and_or_b32 v50, v47, v36, v37
	;;#ASMEND
	;;#ASMSTART
	v_and_or_b32 v52, v25, v36, v37
	;;#ASMEND
	v_lshlrev_b32_e32 v25, 16, v46
	v_add_f32_e32 v47, 0xc3080000, v25
	v_and_b32_e32 v25, 0x7f800000, v47
	v_cmp_ne_u32_e64 s[0:1], s6, v25
                                        ; implicit-def: $vgpr25
	s_and_saveexec_b64 s[24:25], s[0:1]
	s_xor_b64 s[0:1], exec, s[24:25]
; %bb.76:                               ;   in Loop: Header=BB7_3 Depth=1
	v_bfe_u32 v25, v47, 16, 1
	v_add3_u32 v25, v47, v25, s28
                                        ; implicit-def: $vgpr47
; %bb.77:                               ;   in Loop: Header=BB7_3 Depth=1
	s_andn2_saveexec_b64 s[24:25], s[0:1]
; %bb.78:                               ;   in Loop: Header=BB7_3 Depth=1
	v_or_b32_e32 v25, 0x10000, v47
	v_cmp_eq_u32_sdwa s[0:1], v47, v35 src0_sel:WORD_0 src1_sel:DWORD
	v_cndmask_b32_e64 v25, v25, v47, s[0:1]
; %bb.79:                               ;   in Loop: Header=BB7_3 Depth=1
	s_or_b64 exec, exec, s[24:25]
	v_and_b32_e32 v46, 0xffff0000, v46
	v_add_f32_e32 v47, 0xc3080000, v46
	v_and_b32_e32 v46, 0x7f800000, v47
	v_cmp_ne_u32_e64 s[0:1], s6, v46
                                        ; implicit-def: $vgpr46
	s_and_saveexec_b64 s[24:25], s[0:1]
	s_xor_b64 s[0:1], exec, s[24:25]
; %bb.80:                               ;   in Loop: Header=BB7_3 Depth=1
	v_bfe_u32 v46, v47, 16, 1
	v_add3_u32 v46, v47, v46, s28
                                        ; implicit-def: $vgpr47
; %bb.81:                               ;   in Loop: Header=BB7_3 Depth=1
	s_andn2_saveexec_b64 s[24:25], s[0:1]
; %bb.82:                               ;   in Loop: Header=BB7_3 Depth=1
	v_or_b32_e32 v46, 0x10000, v47
	v_cmp_eq_u32_sdwa s[0:1], v47, v35 src0_sel:WORD_0 src1_sel:DWORD
	v_cndmask_b32_e64 v46, v46, v47, s[0:1]
; %bb.83:                               ;   in Loop: Header=BB7_3 Depth=1
	s_or_b64 exec, exec, s[24:25]
	v_lshlrev_b32_e32 v47, 16, v48
	v_add_f32_e32 v49, 0xc3080000, v47
	v_and_b32_e32 v47, 0x7f800000, v49
	v_cmp_ne_u32_e64 s[0:1], s6, v47
                                        ; implicit-def: $vgpr47
	s_and_saveexec_b64 s[24:25], s[0:1]
	s_xor_b64 s[0:1], exec, s[24:25]
; %bb.84:                               ;   in Loop: Header=BB7_3 Depth=1
	v_bfe_u32 v47, v49, 16, 1
	v_add3_u32 v47, v49, v47, s28
                                        ; implicit-def: $vgpr49
; %bb.85:                               ;   in Loop: Header=BB7_3 Depth=1
	s_andn2_saveexec_b64 s[24:25], s[0:1]
; %bb.86:                               ;   in Loop: Header=BB7_3 Depth=1
	v_or_b32_e32 v47, 0x10000, v49
	v_cmp_eq_u32_sdwa s[0:1], v49, v35 src0_sel:WORD_0 src1_sel:DWORD
	v_cndmask_b32_e64 v47, v47, v49, s[0:1]
; %bb.87:                               ;   in Loop: Header=BB7_3 Depth=1
	s_or_b64 exec, exec, s[24:25]
	v_and_b32_e32 v48, 0xffff0000, v48
	v_add_f32_e32 v49, 0xc3080000, v48
	v_and_b32_e32 v48, 0x7f800000, v49
	v_cmp_ne_u32_e64 s[0:1], s6, v48
                                        ; implicit-def: $vgpr48
	s_and_saveexec_b64 s[24:25], s[0:1]
	s_xor_b64 s[0:1], exec, s[24:25]
; %bb.88:                               ;   in Loop: Header=BB7_3 Depth=1
	v_bfe_u32 v48, v49, 16, 1
	v_add3_u32 v48, v49, v48, s28
                                        ; implicit-def: $vgpr49
; %bb.89:                               ;   in Loop: Header=BB7_3 Depth=1
	s_andn2_saveexec_b64 s[24:25], s[0:1]
; %bb.90:                               ;   in Loop: Header=BB7_3 Depth=1
	v_or_b32_e32 v48, 0x10000, v49
	v_cmp_eq_u32_sdwa s[0:1], v49, v35 src0_sel:WORD_0 src1_sel:DWORD
	v_cndmask_b32_e64 v48, v48, v49, s[0:1]
; %bb.91:                               ;   in Loop: Header=BB7_3 Depth=1
	s_or_b64 exec, exec, s[24:25]
	v_lshlrev_b32_e32 v49, 16, v50
	v_add_f32_e32 v51, 0xc3080000, v49
	v_and_b32_e32 v49, 0x7f800000, v51
	v_cmp_ne_u32_e64 s[0:1], s6, v49
                                        ; implicit-def: $vgpr49
	s_and_saveexec_b64 s[24:25], s[0:1]
	s_xor_b64 s[0:1], exec, s[24:25]
; %bb.92:                               ;   in Loop: Header=BB7_3 Depth=1
	v_bfe_u32 v49, v51, 16, 1
	v_add3_u32 v49, v51, v49, s28
                                        ; implicit-def: $vgpr51
; %bb.93:                               ;   in Loop: Header=BB7_3 Depth=1
	s_andn2_saveexec_b64 s[24:25], s[0:1]
; %bb.94:                               ;   in Loop: Header=BB7_3 Depth=1
	v_or_b32_e32 v49, 0x10000, v51
	v_cmp_eq_u32_sdwa s[0:1], v51, v35 src0_sel:WORD_0 src1_sel:DWORD
	v_cndmask_b32_e64 v49, v49, v51, s[0:1]
; %bb.95:                               ;   in Loop: Header=BB7_3 Depth=1
	s_or_b64 exec, exec, s[24:25]
	v_and_b32_e32 v50, 0xffff0000, v50
	v_add_f32_e32 v51, 0xc3080000, v50
	v_and_b32_e32 v50, 0x7f800000, v51
	v_cmp_ne_u32_e64 s[0:1], s6, v50
                                        ; implicit-def: $vgpr50
	s_and_saveexec_b64 s[24:25], s[0:1]
	s_xor_b64 s[0:1], exec, s[24:25]
; %bb.96:                               ;   in Loop: Header=BB7_3 Depth=1
	v_bfe_u32 v50, v51, 16, 1
	v_add3_u32 v50, v51, v50, s28
                                        ; implicit-def: $vgpr51
; %bb.97:                               ;   in Loop: Header=BB7_3 Depth=1
	s_andn2_saveexec_b64 s[24:25], s[0:1]
; %bb.98:                               ;   in Loop: Header=BB7_3 Depth=1
	v_or_b32_e32 v50, 0x10000, v51
	v_cmp_eq_u32_sdwa s[0:1], v51, v35 src0_sel:WORD_0 src1_sel:DWORD
	v_cndmask_b32_e64 v50, v50, v51, s[0:1]
; %bb.99:                               ;   in Loop: Header=BB7_3 Depth=1
	s_or_b64 exec, exec, s[24:25]
	v_lshlrev_b32_e32 v51, 16, v52
	v_add_f32_e32 v53, 0xc3080000, v51
	v_and_b32_e32 v51, 0x7f800000, v53
	v_cmp_ne_u32_e64 s[0:1], s6, v51
                                        ; implicit-def: $vgpr51
	s_and_saveexec_b64 s[24:25], s[0:1]
	s_xor_b64 s[0:1], exec, s[24:25]
; %bb.100:                              ;   in Loop: Header=BB7_3 Depth=1
	v_bfe_u32 v51, v53, 16, 1
	v_add3_u32 v51, v53, v51, s28
                                        ; implicit-def: $vgpr53
; %bb.101:                              ;   in Loop: Header=BB7_3 Depth=1
	s_andn2_saveexec_b64 s[24:25], s[0:1]
; %bb.102:                              ;   in Loop: Header=BB7_3 Depth=1
	v_or_b32_e32 v51, 0x10000, v53
	v_cmp_eq_u32_sdwa s[0:1], v53, v35 src0_sel:WORD_0 src1_sel:DWORD
	v_cndmask_b32_e64 v51, v51, v53, s[0:1]
; %bb.103:                              ;   in Loop: Header=BB7_3 Depth=1
	s_or_b64 exec, exec, s[24:25]
	v_and_b32_e32 v52, 0xffff0000, v52
	v_add_f32_e32 v53, 0xc3080000, v52
	v_and_b32_e32 v52, 0x7f800000, v53
	v_cmp_ne_u32_e64 s[0:1], s6, v52
                                        ; implicit-def: $vgpr52
	s_and_saveexec_b64 s[24:25], s[0:1]
	s_xor_b64 s[0:1], exec, s[24:25]
; %bb.104:                              ;   in Loop: Header=BB7_3 Depth=1
	v_bfe_u32 v52, v53, 16, 1
	v_add3_u32 v52, v53, v52, s28
                                        ; implicit-def: $vgpr53
; %bb.105:                              ;   in Loop: Header=BB7_3 Depth=1
	s_andn2_saveexec_b64 s[24:25], s[0:1]
; %bb.106:                              ;   in Loop: Header=BB7_3 Depth=1
	v_or_b32_e32 v52, 0x10000, v53
	v_cmp_eq_u32_sdwa s[0:1], v53, v35 src0_sel:WORD_0 src1_sel:DWORD
	v_cndmask_b32_e64 v52, v52, v53, s[0:1]
; %bb.107:                              ;   in Loop: Header=BB7_3 Depth=1
	s_or_b64 exec, exec, s[24:25]
	v_and_b32_e32 v25, 0xffff0000, v25
	v_fma_f32 v53, v25, v39, v24
	v_and_b32_e32 v25, 0x7f800000, v53
	v_cmp_ne_u32_e64 s[0:1], s6, v25
                                        ; implicit-def: $vgpr25
	s_and_saveexec_b64 s[24:25], s[0:1]
	s_xor_b64 s[0:1], exec, s[24:25]
; %bb.108:                              ;   in Loop: Header=BB7_3 Depth=1
	v_bfe_u32 v25, v53, 16, 1
	v_add3_u32 v25, v53, v25, s28
                                        ; implicit-def: $vgpr53
; %bb.109:                              ;   in Loop: Header=BB7_3 Depth=1
	s_andn2_saveexec_b64 s[24:25], s[0:1]
; %bb.110:                              ;   in Loop: Header=BB7_3 Depth=1
	v_or_b32_e32 v25, 0x10000, v53
	v_cmp_eq_u32_sdwa s[0:1], v53, v35 src0_sel:WORD_0 src1_sel:DWORD
	v_cndmask_b32_e64 v25, v25, v53, s[0:1]
; %bb.111:                              ;   in Loop: Header=BB7_3 Depth=1
	s_or_b64 exec, exec, s[24:25]
	v_and_b32_e32 v46, 0xffff0000, v46
	v_fma_f32 v53, v46, v39, v24
	v_and_b32_e32 v46, 0x7f800000, v53
	v_cmp_ne_u32_e64 s[0:1], s6, v46
                                        ; implicit-def: $vgpr46
	s_and_saveexec_b64 s[24:25], s[0:1]
	s_xor_b64 s[0:1], exec, s[24:25]
; %bb.112:                              ;   in Loop: Header=BB7_3 Depth=1
	v_bfe_u32 v46, v53, 16, 1
	v_add3_u32 v46, v53, v46, s28
                                        ; implicit-def: $vgpr53
; %bb.113:                              ;   in Loop: Header=BB7_3 Depth=1
	s_andn2_saveexec_b64 s[24:25], s[0:1]
; %bb.114:                              ;   in Loop: Header=BB7_3 Depth=1
	v_or_b32_e32 v46, 0x10000, v53
	v_cmp_eq_u32_sdwa s[0:1], v53, v35 src0_sel:WORD_0 src1_sel:DWORD
	v_cndmask_b32_e64 v46, v46, v53, s[0:1]
; %bb.115:                              ;   in Loop: Header=BB7_3 Depth=1
	s_or_b64 exec, exec, s[24:25]
	v_and_b32_e32 v47, 0xffff0000, v47
	v_fma_f32 v53, v47, v39, v24
	v_and_b32_e32 v47, 0x7f800000, v53
	v_cmp_ne_u32_e64 s[0:1], s6, v47
                                        ; implicit-def: $vgpr47
	s_and_saveexec_b64 s[24:25], s[0:1]
	s_xor_b64 s[0:1], exec, s[24:25]
; %bb.116:                              ;   in Loop: Header=BB7_3 Depth=1
	v_bfe_u32 v47, v53, 16, 1
	v_add3_u32 v47, v53, v47, s28
                                        ; implicit-def: $vgpr53
; %bb.117:                              ;   in Loop: Header=BB7_3 Depth=1
	s_andn2_saveexec_b64 s[24:25], s[0:1]
; %bb.118:                              ;   in Loop: Header=BB7_3 Depth=1
	v_or_b32_e32 v47, 0x10000, v53
	v_cmp_eq_u32_sdwa s[0:1], v53, v35 src0_sel:WORD_0 src1_sel:DWORD
	v_cndmask_b32_e64 v47, v47, v53, s[0:1]
; %bb.119:                              ;   in Loop: Header=BB7_3 Depth=1
	s_or_b64 exec, exec, s[24:25]
	v_and_b32_e32 v48, 0xffff0000, v48
	v_fma_f32 v53, v48, v39, v24
	v_and_b32_e32 v48, 0x7f800000, v53
	v_cmp_ne_u32_e64 s[0:1], s6, v48
                                        ; implicit-def: $vgpr48
	s_and_saveexec_b64 s[24:25], s[0:1]
	s_xor_b64 s[0:1], exec, s[24:25]
; %bb.120:                              ;   in Loop: Header=BB7_3 Depth=1
	v_bfe_u32 v48, v53, 16, 1
	v_add3_u32 v48, v53, v48, s28
                                        ; implicit-def: $vgpr53
; %bb.121:                              ;   in Loop: Header=BB7_3 Depth=1
	s_andn2_saveexec_b64 s[24:25], s[0:1]
; %bb.122:                              ;   in Loop: Header=BB7_3 Depth=1
	v_or_b32_e32 v48, 0x10000, v53
	v_cmp_eq_u32_sdwa s[0:1], v53, v35 src0_sel:WORD_0 src1_sel:DWORD
	v_cndmask_b32_e64 v48, v48, v53, s[0:1]
; %bb.123:                              ;   in Loop: Header=BB7_3 Depth=1
	s_or_b64 exec, exec, s[24:25]
	v_and_b32_e32 v49, 0xffff0000, v49
	v_fma_f32 v53, v49, v39, v24
	v_and_b32_e32 v49, 0x7f800000, v53
	v_cmp_ne_u32_e64 s[0:1], s6, v49
                                        ; implicit-def: $vgpr49
	s_and_saveexec_b64 s[24:25], s[0:1]
	s_xor_b64 s[0:1], exec, s[24:25]
; %bb.124:                              ;   in Loop: Header=BB7_3 Depth=1
	v_bfe_u32 v49, v53, 16, 1
	v_add3_u32 v49, v53, v49, s28
                                        ; implicit-def: $vgpr53
; %bb.125:                              ;   in Loop: Header=BB7_3 Depth=1
	s_andn2_saveexec_b64 s[24:25], s[0:1]
; %bb.126:                              ;   in Loop: Header=BB7_3 Depth=1
	v_or_b32_e32 v49, 0x10000, v53
	v_cmp_eq_u32_sdwa s[0:1], v53, v35 src0_sel:WORD_0 src1_sel:DWORD
	v_cndmask_b32_e64 v49, v49, v53, s[0:1]
; %bb.127:                              ;   in Loop: Header=BB7_3 Depth=1
	s_or_b64 exec, exec, s[24:25]
	v_and_b32_e32 v50, 0xffff0000, v50
	v_fma_f32 v53, v50, v39, v24
	v_and_b32_e32 v50, 0x7f800000, v53
	v_cmp_ne_u32_e64 s[0:1], s6, v50
                                        ; implicit-def: $vgpr50
	s_and_saveexec_b64 s[24:25], s[0:1]
	s_xor_b64 s[0:1], exec, s[24:25]
; %bb.128:                              ;   in Loop: Header=BB7_3 Depth=1
	v_bfe_u32 v50, v53, 16, 1
	v_add3_u32 v50, v53, v50, s28
                                        ; implicit-def: $vgpr53
; %bb.129:                              ;   in Loop: Header=BB7_3 Depth=1
	s_andn2_saveexec_b64 s[24:25], s[0:1]
; %bb.130:                              ;   in Loop: Header=BB7_3 Depth=1
	v_or_b32_e32 v50, 0x10000, v53
	v_cmp_eq_u32_sdwa s[0:1], v53, v35 src0_sel:WORD_0 src1_sel:DWORD
	v_cndmask_b32_e64 v50, v50, v53, s[0:1]
; %bb.131:                              ;   in Loop: Header=BB7_3 Depth=1
	s_or_b64 exec, exec, s[24:25]
	v_and_b32_e32 v51, 0xffff0000, v51
	v_fma_f32 v53, v51, v39, v24
	v_and_b32_e32 v51, 0x7f800000, v53
	v_cmp_ne_u32_e64 s[0:1], s6, v51
                                        ; implicit-def: $vgpr51
	s_and_saveexec_b64 s[24:25], s[0:1]
	s_xor_b64 s[0:1], exec, s[24:25]
; %bb.132:                              ;   in Loop: Header=BB7_3 Depth=1
	v_bfe_u32 v51, v53, 16, 1
	v_add3_u32 v51, v53, v51, s28
                                        ; implicit-def: $vgpr53
; %bb.133:                              ;   in Loop: Header=BB7_3 Depth=1
	s_andn2_saveexec_b64 s[24:25], s[0:1]
; %bb.134:                              ;   in Loop: Header=BB7_3 Depth=1
	v_or_b32_e32 v51, 0x10000, v53
	v_cmp_eq_u32_sdwa s[0:1], v53, v35 src0_sel:WORD_0 src1_sel:DWORD
	v_cndmask_b32_e64 v51, v51, v53, s[0:1]
; %bb.135:                              ;   in Loop: Header=BB7_3 Depth=1
	s_or_b64 exec, exec, s[24:25]
	v_and_b32_e32 v52, 0xffff0000, v52
	v_fma_f32 v53, v52, v39, v24
	v_and_b32_e32 v52, 0x7f800000, v53
	v_cmp_ne_u32_e64 s[0:1], s6, v52
                                        ; implicit-def: $vgpr52
	s_and_saveexec_b64 s[24:25], s[0:1]
	s_xor_b64 s[0:1], exec, s[24:25]
; %bb.136:                              ;   in Loop: Header=BB7_3 Depth=1
	v_bfe_u32 v52, v53, 16, 1
	v_add3_u32 v52, v53, v52, s28
                                        ; implicit-def: $vgpr53
; %bb.137:                              ;   in Loop: Header=BB7_3 Depth=1
	s_andn2_saveexec_b64 s[24:25], s[0:1]
; %bb.138:                              ;   in Loop: Header=BB7_3 Depth=1
	v_or_b32_e32 v52, 0x10000, v53
	v_cmp_eq_u32_sdwa s[0:1], v53, v35 src0_sel:WORD_0 src1_sel:DWORD
	v_cndmask_b32_e64 v52, v52, v53, s[0:1]
; %bb.139:                              ;   in Loop: Header=BB7_3 Depth=1
	s_or_b64 exec, exec, s[24:25]
	v_lshrrev_b32_e32 v54, 4, v22
	;;#ASMSTART
	v_and_or_b32 v53, v22, v36, v37
	;;#ASMEND
	;;#ASMSTART
	v_and_or_b32 v55, v54, v36, v37
	;;#ASMEND
	v_lshrrev_b32_e32 v54, 8, v22
	v_lshrrev_b32_e32 v22, 12, v22
	;;#ASMSTART
	v_and_or_b32 v57, v54, v36, v37
	;;#ASMEND
	;;#ASMSTART
	v_and_or_b32 v59, v22, v36, v37
	;;#ASMEND
	v_lshlrev_b32_e32 v22, 16, v53
	v_add_f32_e32 v54, 0xc3080000, v22
	v_and_b32_e32 v22, 0x7f800000, v54
	v_cmp_ne_u32_e64 s[0:1], s6, v22
                                        ; implicit-def: $vgpr22
	s_and_saveexec_b64 s[24:25], s[0:1]
	s_xor_b64 s[0:1], exec, s[24:25]
; %bb.140:                              ;   in Loop: Header=BB7_3 Depth=1
	v_bfe_u32 v22, v54, 16, 1
	v_add3_u32 v22, v54, v22, s28
                                        ; implicit-def: $vgpr54
; %bb.141:                              ;   in Loop: Header=BB7_3 Depth=1
	s_andn2_saveexec_b64 s[24:25], s[0:1]
; %bb.142:                              ;   in Loop: Header=BB7_3 Depth=1
	v_or_b32_e32 v22, 0x10000, v54
	v_cmp_eq_u32_sdwa s[0:1], v54, v35 src0_sel:WORD_0 src1_sel:DWORD
	v_cndmask_b32_e64 v22, v22, v54, s[0:1]
; %bb.143:                              ;   in Loop: Header=BB7_3 Depth=1
	s_or_b64 exec, exec, s[24:25]
	v_and_b32_e32 v53, 0xffff0000, v53
	v_add_f32_e32 v54, 0xc3080000, v53
	v_and_b32_e32 v53, 0x7f800000, v54
	v_cmp_ne_u32_e64 s[0:1], s6, v53
                                        ; implicit-def: $vgpr53
	s_and_saveexec_b64 s[24:25], s[0:1]
	s_xor_b64 s[0:1], exec, s[24:25]
; %bb.144:                              ;   in Loop: Header=BB7_3 Depth=1
	v_bfe_u32 v53, v54, 16, 1
	v_add3_u32 v53, v54, v53, s28
                                        ; implicit-def: $vgpr54
; %bb.145:                              ;   in Loop: Header=BB7_3 Depth=1
	s_andn2_saveexec_b64 s[24:25], s[0:1]
; %bb.146:                              ;   in Loop: Header=BB7_3 Depth=1
	v_or_b32_e32 v53, 0x10000, v54
	v_cmp_eq_u32_sdwa s[0:1], v54, v35 src0_sel:WORD_0 src1_sel:DWORD
	v_cndmask_b32_e64 v53, v53, v54, s[0:1]
; %bb.147:                              ;   in Loop: Header=BB7_3 Depth=1
	s_or_b64 exec, exec, s[24:25]
	v_lshlrev_b32_e32 v54, 16, v55
	v_add_f32_e32 v56, 0xc3080000, v54
	v_and_b32_e32 v54, 0x7f800000, v56
	v_cmp_ne_u32_e64 s[0:1], s6, v54
                                        ; implicit-def: $vgpr54
	s_and_saveexec_b64 s[24:25], s[0:1]
	s_xor_b64 s[0:1], exec, s[24:25]
; %bb.148:                              ;   in Loop: Header=BB7_3 Depth=1
	v_bfe_u32 v54, v56, 16, 1
	v_add3_u32 v54, v56, v54, s28
                                        ; implicit-def: $vgpr56
; %bb.149:                              ;   in Loop: Header=BB7_3 Depth=1
	s_andn2_saveexec_b64 s[24:25], s[0:1]
; %bb.150:                              ;   in Loop: Header=BB7_3 Depth=1
	v_or_b32_e32 v54, 0x10000, v56
	v_cmp_eq_u32_sdwa s[0:1], v56, v35 src0_sel:WORD_0 src1_sel:DWORD
	v_cndmask_b32_e64 v54, v54, v56, s[0:1]
; %bb.151:                              ;   in Loop: Header=BB7_3 Depth=1
	s_or_b64 exec, exec, s[24:25]
	v_and_b32_e32 v55, 0xffff0000, v55
	v_add_f32_e32 v56, 0xc3080000, v55
	v_and_b32_e32 v55, 0x7f800000, v56
	v_cmp_ne_u32_e64 s[0:1], s6, v55
                                        ; implicit-def: $vgpr55
	s_and_saveexec_b64 s[24:25], s[0:1]
	s_xor_b64 s[0:1], exec, s[24:25]
; %bb.152:                              ;   in Loop: Header=BB7_3 Depth=1
	v_bfe_u32 v55, v56, 16, 1
	v_add3_u32 v55, v56, v55, s28
                                        ; implicit-def: $vgpr56
; %bb.153:                              ;   in Loop: Header=BB7_3 Depth=1
	s_andn2_saveexec_b64 s[24:25], s[0:1]
; %bb.154:                              ;   in Loop: Header=BB7_3 Depth=1
	v_or_b32_e32 v55, 0x10000, v56
	v_cmp_eq_u32_sdwa s[0:1], v56, v35 src0_sel:WORD_0 src1_sel:DWORD
	v_cndmask_b32_e64 v55, v55, v56, s[0:1]
; %bb.155:                              ;   in Loop: Header=BB7_3 Depth=1
	s_or_b64 exec, exec, s[24:25]
	v_lshlrev_b32_e32 v56, 16, v57
	v_add_f32_e32 v58, 0xc3080000, v56
	v_and_b32_e32 v56, 0x7f800000, v58
	v_cmp_ne_u32_e64 s[0:1], s6, v56
                                        ; implicit-def: $vgpr56
	s_and_saveexec_b64 s[24:25], s[0:1]
	s_xor_b64 s[0:1], exec, s[24:25]
; %bb.156:                              ;   in Loop: Header=BB7_3 Depth=1
	v_bfe_u32 v56, v58, 16, 1
	v_add3_u32 v56, v58, v56, s28
                                        ; implicit-def: $vgpr58
; %bb.157:                              ;   in Loop: Header=BB7_3 Depth=1
	s_andn2_saveexec_b64 s[24:25], s[0:1]
; %bb.158:                              ;   in Loop: Header=BB7_3 Depth=1
	v_or_b32_e32 v56, 0x10000, v58
	v_cmp_eq_u32_sdwa s[0:1], v58, v35 src0_sel:WORD_0 src1_sel:DWORD
	v_cndmask_b32_e64 v56, v56, v58, s[0:1]
; %bb.159:                              ;   in Loop: Header=BB7_3 Depth=1
	s_or_b64 exec, exec, s[24:25]
	v_and_b32_e32 v57, 0xffff0000, v57
	v_add_f32_e32 v58, 0xc3080000, v57
	v_and_b32_e32 v57, 0x7f800000, v58
	v_cmp_ne_u32_e64 s[0:1], s6, v57
                                        ; implicit-def: $vgpr57
	s_and_saveexec_b64 s[24:25], s[0:1]
	s_xor_b64 s[0:1], exec, s[24:25]
; %bb.160:                              ;   in Loop: Header=BB7_3 Depth=1
	v_bfe_u32 v57, v58, 16, 1
	v_add3_u32 v57, v58, v57, s28
                                        ; implicit-def: $vgpr58
; %bb.161:                              ;   in Loop: Header=BB7_3 Depth=1
	s_andn2_saveexec_b64 s[24:25], s[0:1]
; %bb.162:                              ;   in Loop: Header=BB7_3 Depth=1
	v_or_b32_e32 v57, 0x10000, v58
	v_cmp_eq_u32_sdwa s[0:1], v58, v35 src0_sel:WORD_0 src1_sel:DWORD
	v_cndmask_b32_e64 v57, v57, v58, s[0:1]
; %bb.163:                              ;   in Loop: Header=BB7_3 Depth=1
	s_or_b64 exec, exec, s[24:25]
	v_lshlrev_b32_e32 v58, 16, v59
	v_add_f32_e32 v60, 0xc3080000, v58
	v_and_b32_e32 v58, 0x7f800000, v60
	v_cmp_ne_u32_e64 s[0:1], s6, v58
                                        ; implicit-def: $vgpr58
	s_and_saveexec_b64 s[24:25], s[0:1]
	s_xor_b64 s[0:1], exec, s[24:25]
; %bb.164:                              ;   in Loop: Header=BB7_3 Depth=1
	v_bfe_u32 v58, v60, 16, 1
	v_add3_u32 v58, v60, v58, s28
                                        ; implicit-def: $vgpr60
; %bb.165:                              ;   in Loop: Header=BB7_3 Depth=1
	s_andn2_saveexec_b64 s[24:25], s[0:1]
; %bb.166:                              ;   in Loop: Header=BB7_3 Depth=1
	v_or_b32_e32 v58, 0x10000, v60
	v_cmp_eq_u32_sdwa s[0:1], v60, v35 src0_sel:WORD_0 src1_sel:DWORD
	v_cndmask_b32_e64 v58, v58, v60, s[0:1]
; %bb.167:                              ;   in Loop: Header=BB7_3 Depth=1
	s_or_b64 exec, exec, s[24:25]
	v_and_b32_e32 v59, 0xffff0000, v59
	v_add_f32_e32 v60, 0xc3080000, v59
	v_and_b32_e32 v59, 0x7f800000, v60
	v_cmp_ne_u32_e64 s[0:1], s6, v59
                                        ; implicit-def: $vgpr59
	s_and_saveexec_b64 s[24:25], s[0:1]
	s_xor_b64 s[0:1], exec, s[24:25]
; %bb.168:                              ;   in Loop: Header=BB7_3 Depth=1
	v_bfe_u32 v59, v60, 16, 1
	v_add3_u32 v59, v60, v59, s28
                                        ; implicit-def: $vgpr60
; %bb.169:                              ;   in Loop: Header=BB7_3 Depth=1
	s_andn2_saveexec_b64 s[24:25], s[0:1]
; %bb.170:                              ;   in Loop: Header=BB7_3 Depth=1
	v_or_b32_e32 v59, 0x10000, v60
	v_cmp_eq_u32_sdwa s[0:1], v60, v35 src0_sel:WORD_0 src1_sel:DWORD
	v_cndmask_b32_e64 v59, v59, v60, s[0:1]
; %bb.171:                              ;   in Loop: Header=BB7_3 Depth=1
	s_or_b64 exec, exec, s[24:25]
	v_and_b32_e32 v22, 0xffff0000, v22
	v_fma_f32 v60, v22, v39, v24
	v_and_b32_e32 v22, 0x7f800000, v60
	v_cmp_ne_u32_e64 s[0:1], s6, v22
                                        ; implicit-def: $vgpr22
	s_and_saveexec_b64 s[24:25], s[0:1]
	s_xor_b64 s[0:1], exec, s[24:25]
; %bb.172:                              ;   in Loop: Header=BB7_3 Depth=1
	v_bfe_u32 v22, v60, 16, 1
	v_add3_u32 v22, v60, v22, s28
                                        ; implicit-def: $vgpr60
; %bb.173:                              ;   in Loop: Header=BB7_3 Depth=1
	s_andn2_saveexec_b64 s[24:25], s[0:1]
; %bb.174:                              ;   in Loop: Header=BB7_3 Depth=1
	v_or_b32_e32 v22, 0x10000, v60
	v_cmp_eq_u32_sdwa s[0:1], v60, v35 src0_sel:WORD_0 src1_sel:DWORD
	v_cndmask_b32_e64 v22, v22, v60, s[0:1]
; %bb.175:                              ;   in Loop: Header=BB7_3 Depth=1
	s_or_b64 exec, exec, s[24:25]
	v_and_b32_e32 v53, 0xffff0000, v53
	v_fma_f32 v60, v53, v39, v24
	v_and_b32_e32 v53, 0x7f800000, v60
	v_cmp_ne_u32_e64 s[0:1], s6, v53
                                        ; implicit-def: $vgpr53
	s_and_saveexec_b64 s[24:25], s[0:1]
	s_xor_b64 s[0:1], exec, s[24:25]
; %bb.176:                              ;   in Loop: Header=BB7_3 Depth=1
	v_bfe_u32 v53, v60, 16, 1
	v_add3_u32 v53, v60, v53, s28
                                        ; implicit-def: $vgpr60
; %bb.177:                              ;   in Loop: Header=BB7_3 Depth=1
	s_andn2_saveexec_b64 s[24:25], s[0:1]
; %bb.178:                              ;   in Loop: Header=BB7_3 Depth=1
	v_or_b32_e32 v53, 0x10000, v60
	v_cmp_eq_u32_sdwa s[0:1], v60, v35 src0_sel:WORD_0 src1_sel:DWORD
	v_cndmask_b32_e64 v53, v53, v60, s[0:1]
; %bb.179:                              ;   in Loop: Header=BB7_3 Depth=1
	s_or_b64 exec, exec, s[24:25]
	v_and_b32_e32 v54, 0xffff0000, v54
	v_fma_f32 v60, v54, v39, v24
	v_and_b32_e32 v54, 0x7f800000, v60
	v_cmp_ne_u32_e64 s[0:1], s6, v54
                                        ; implicit-def: $vgpr54
	s_and_saveexec_b64 s[24:25], s[0:1]
	s_xor_b64 s[0:1], exec, s[24:25]
; %bb.180:                              ;   in Loop: Header=BB7_3 Depth=1
	v_bfe_u32 v54, v60, 16, 1
	v_add3_u32 v54, v60, v54, s28
                                        ; implicit-def: $vgpr60
; %bb.181:                              ;   in Loop: Header=BB7_3 Depth=1
	s_andn2_saveexec_b64 s[24:25], s[0:1]
; %bb.182:                              ;   in Loop: Header=BB7_3 Depth=1
	v_or_b32_e32 v54, 0x10000, v60
	v_cmp_eq_u32_sdwa s[0:1], v60, v35 src0_sel:WORD_0 src1_sel:DWORD
	v_cndmask_b32_e64 v54, v54, v60, s[0:1]
; %bb.183:                              ;   in Loop: Header=BB7_3 Depth=1
	s_or_b64 exec, exec, s[24:25]
	v_and_b32_e32 v55, 0xffff0000, v55
	v_fma_f32 v60, v55, v39, v24
	v_and_b32_e32 v55, 0x7f800000, v60
	v_cmp_ne_u32_e64 s[0:1], s6, v55
                                        ; implicit-def: $vgpr55
	s_and_saveexec_b64 s[24:25], s[0:1]
	s_xor_b64 s[0:1], exec, s[24:25]
; %bb.184:                              ;   in Loop: Header=BB7_3 Depth=1
	v_bfe_u32 v55, v60, 16, 1
	v_add3_u32 v55, v60, v55, s28
                                        ; implicit-def: $vgpr60
; %bb.185:                              ;   in Loop: Header=BB7_3 Depth=1
	s_andn2_saveexec_b64 s[24:25], s[0:1]
; %bb.186:                              ;   in Loop: Header=BB7_3 Depth=1
	v_or_b32_e32 v55, 0x10000, v60
	v_cmp_eq_u32_sdwa s[0:1], v60, v35 src0_sel:WORD_0 src1_sel:DWORD
	v_cndmask_b32_e64 v55, v55, v60, s[0:1]
; %bb.187:                              ;   in Loop: Header=BB7_3 Depth=1
	s_or_b64 exec, exec, s[24:25]
	v_and_b32_e32 v56, 0xffff0000, v56
	v_fma_f32 v60, v56, v39, v24
	v_and_b32_e32 v56, 0x7f800000, v60
	v_cmp_ne_u32_e64 s[0:1], s6, v56
                                        ; implicit-def: $vgpr56
	s_and_saveexec_b64 s[24:25], s[0:1]
	s_xor_b64 s[0:1], exec, s[24:25]
; %bb.188:                              ;   in Loop: Header=BB7_3 Depth=1
	v_bfe_u32 v56, v60, 16, 1
	v_add3_u32 v56, v60, v56, s28
                                        ; implicit-def: $vgpr60
; %bb.189:                              ;   in Loop: Header=BB7_3 Depth=1
	s_andn2_saveexec_b64 s[24:25], s[0:1]
; %bb.190:                              ;   in Loop: Header=BB7_3 Depth=1
	v_or_b32_e32 v56, 0x10000, v60
	v_cmp_eq_u32_sdwa s[0:1], v60, v35 src0_sel:WORD_0 src1_sel:DWORD
	v_cndmask_b32_e64 v56, v56, v60, s[0:1]
; %bb.191:                              ;   in Loop: Header=BB7_3 Depth=1
	s_or_b64 exec, exec, s[24:25]
	v_and_b32_e32 v57, 0xffff0000, v57
	v_fma_f32 v60, v57, v39, v24
	v_and_b32_e32 v57, 0x7f800000, v60
	v_cmp_ne_u32_e64 s[0:1], s6, v57
                                        ; implicit-def: $vgpr57
	s_and_saveexec_b64 s[24:25], s[0:1]
	s_xor_b64 s[0:1], exec, s[24:25]
; %bb.192:                              ;   in Loop: Header=BB7_3 Depth=1
	v_bfe_u32 v57, v60, 16, 1
	v_add3_u32 v57, v60, v57, s28
                                        ; implicit-def: $vgpr60
; %bb.193:                              ;   in Loop: Header=BB7_3 Depth=1
	s_andn2_saveexec_b64 s[24:25], s[0:1]
; %bb.194:                              ;   in Loop: Header=BB7_3 Depth=1
	v_or_b32_e32 v57, 0x10000, v60
	v_cmp_eq_u32_sdwa s[0:1], v60, v35 src0_sel:WORD_0 src1_sel:DWORD
	v_cndmask_b32_e64 v57, v57, v60, s[0:1]
; %bb.195:                              ;   in Loop: Header=BB7_3 Depth=1
	s_or_b64 exec, exec, s[24:25]
	v_and_b32_e32 v58, 0xffff0000, v58
	v_fma_f32 v60, v58, v39, v24
	v_and_b32_e32 v58, 0x7f800000, v60
	v_cmp_ne_u32_e64 s[0:1], s6, v58
                                        ; implicit-def: $vgpr58
	s_and_saveexec_b64 s[24:25], s[0:1]
	s_xor_b64 s[0:1], exec, s[24:25]
; %bb.196:                              ;   in Loop: Header=BB7_3 Depth=1
	v_bfe_u32 v58, v60, 16, 1
	v_add3_u32 v58, v60, v58, s28
                                        ; implicit-def: $vgpr60
; %bb.197:                              ;   in Loop: Header=BB7_3 Depth=1
	s_andn2_saveexec_b64 s[24:25], s[0:1]
; %bb.198:                              ;   in Loop: Header=BB7_3 Depth=1
	v_or_b32_e32 v58, 0x10000, v60
	v_cmp_eq_u32_sdwa s[0:1], v60, v35 src0_sel:WORD_0 src1_sel:DWORD
	v_cndmask_b32_e64 v58, v58, v60, s[0:1]
; %bb.199:                              ;   in Loop: Header=BB7_3 Depth=1
	s_or_b64 exec, exec, s[24:25]
	v_and_b32_e32 v59, 0xffff0000, v59
	v_fma_f32 v60, v59, v39, v24
	v_and_b32_e32 v59, 0x7f800000, v60
	v_cmp_ne_u32_e64 s[0:1], s6, v59
                                        ; implicit-def: $vgpr59
	s_and_saveexec_b64 s[24:25], s[0:1]
	s_xor_b64 s[0:1], exec, s[24:25]
; %bb.200:                              ;   in Loop: Header=BB7_3 Depth=1
	v_bfe_u32 v59, v60, 16, 1
	v_add3_u32 v59, v60, v59, s28
                                        ; implicit-def: $vgpr60
; %bb.201:                              ;   in Loop: Header=BB7_3 Depth=1
	s_andn2_saveexec_b64 s[24:25], s[0:1]
; %bb.202:                              ;   in Loop: Header=BB7_3 Depth=1
	v_or_b32_e32 v59, 0x10000, v60
	v_cmp_eq_u32_sdwa s[0:1], v60, v35 src0_sel:WORD_0 src1_sel:DWORD
	v_cndmask_b32_e64 v59, v59, v60, s[0:1]
; %bb.203:                              ;   in Loop: Header=BB7_3 Depth=1
	s_or_b64 exec, exec, s[24:25]
	v_lshrrev_b32_e32 v61, 4, v23
	;;#ASMSTART
	v_and_or_b32 v60, v23, v36, v37
	;;#ASMEND
	;;#ASMSTART
	v_and_or_b32 v62, v61, v36, v37
	;;#ASMEND
	v_lshrrev_b32_e32 v61, 8, v23
	v_lshrrev_b32_e32 v23, 12, v23
	;;#ASMSTART
	v_and_or_b32 v64, v61, v36, v37
	;;#ASMEND
	;;#ASMSTART
	v_and_or_b32 v66, v23, v36, v37
	;;#ASMEND
	v_lshlrev_b32_e32 v23, 16, v60
	v_add_f32_e32 v61, 0xc3080000, v23
	v_and_b32_e32 v23, 0x7f800000, v61
	v_cmp_ne_u32_e64 s[0:1], s6, v23
                                        ; implicit-def: $vgpr23
	s_and_saveexec_b64 s[24:25], s[0:1]
	s_xor_b64 s[0:1], exec, s[24:25]
; %bb.204:                              ;   in Loop: Header=BB7_3 Depth=1
	v_bfe_u32 v23, v61, 16, 1
	v_add3_u32 v23, v61, v23, s28
                                        ; implicit-def: $vgpr61
; %bb.205:                              ;   in Loop: Header=BB7_3 Depth=1
	s_andn2_saveexec_b64 s[24:25], s[0:1]
; %bb.206:                              ;   in Loop: Header=BB7_3 Depth=1
	v_or_b32_e32 v23, 0x10000, v61
	v_cmp_eq_u32_sdwa s[0:1], v61, v35 src0_sel:WORD_0 src1_sel:DWORD
	v_cndmask_b32_e64 v23, v23, v61, s[0:1]
; %bb.207:                              ;   in Loop: Header=BB7_3 Depth=1
	s_or_b64 exec, exec, s[24:25]
	v_and_b32_e32 v60, 0xffff0000, v60
	v_add_f32_e32 v61, 0xc3080000, v60
	v_and_b32_e32 v60, 0x7f800000, v61
	v_cmp_ne_u32_e64 s[0:1], s6, v60
                                        ; implicit-def: $vgpr60
	s_and_saveexec_b64 s[24:25], s[0:1]
	s_xor_b64 s[0:1], exec, s[24:25]
; %bb.208:                              ;   in Loop: Header=BB7_3 Depth=1
	v_bfe_u32 v60, v61, 16, 1
	v_add3_u32 v60, v61, v60, s28
                                        ; implicit-def: $vgpr61
; %bb.209:                              ;   in Loop: Header=BB7_3 Depth=1
	s_andn2_saveexec_b64 s[24:25], s[0:1]
; %bb.210:                              ;   in Loop: Header=BB7_3 Depth=1
	v_or_b32_e32 v60, 0x10000, v61
	v_cmp_eq_u32_sdwa s[0:1], v61, v35 src0_sel:WORD_0 src1_sel:DWORD
	v_cndmask_b32_e64 v60, v60, v61, s[0:1]
; %bb.211:                              ;   in Loop: Header=BB7_3 Depth=1
	s_or_b64 exec, exec, s[24:25]
	v_lshlrev_b32_e32 v61, 16, v62
	v_add_f32_e32 v63, 0xc3080000, v61
	v_and_b32_e32 v61, 0x7f800000, v63
	v_cmp_ne_u32_e64 s[0:1], s6, v61
                                        ; implicit-def: $vgpr61
	s_and_saveexec_b64 s[24:25], s[0:1]
	s_xor_b64 s[0:1], exec, s[24:25]
; %bb.212:                              ;   in Loop: Header=BB7_3 Depth=1
	v_bfe_u32 v61, v63, 16, 1
	v_add3_u32 v61, v63, v61, s28
                                        ; implicit-def: $vgpr63
; %bb.213:                              ;   in Loop: Header=BB7_3 Depth=1
	s_andn2_saveexec_b64 s[24:25], s[0:1]
; %bb.214:                              ;   in Loop: Header=BB7_3 Depth=1
	v_or_b32_e32 v61, 0x10000, v63
	v_cmp_eq_u32_sdwa s[0:1], v63, v35 src0_sel:WORD_0 src1_sel:DWORD
	v_cndmask_b32_e64 v61, v61, v63, s[0:1]
; %bb.215:                              ;   in Loop: Header=BB7_3 Depth=1
	s_or_b64 exec, exec, s[24:25]
	v_and_b32_e32 v62, 0xffff0000, v62
	v_add_f32_e32 v63, 0xc3080000, v62
	v_and_b32_e32 v62, 0x7f800000, v63
	v_cmp_ne_u32_e64 s[0:1], s6, v62
                                        ; implicit-def: $vgpr62
	s_and_saveexec_b64 s[24:25], s[0:1]
	s_xor_b64 s[0:1], exec, s[24:25]
; %bb.216:                              ;   in Loop: Header=BB7_3 Depth=1
	v_bfe_u32 v62, v63, 16, 1
	v_add3_u32 v62, v63, v62, s28
                                        ; implicit-def: $vgpr63
; %bb.217:                              ;   in Loop: Header=BB7_3 Depth=1
	s_andn2_saveexec_b64 s[24:25], s[0:1]
; %bb.218:                              ;   in Loop: Header=BB7_3 Depth=1
	v_or_b32_e32 v62, 0x10000, v63
	v_cmp_eq_u32_sdwa s[0:1], v63, v35 src0_sel:WORD_0 src1_sel:DWORD
	v_cndmask_b32_e64 v62, v62, v63, s[0:1]
; %bb.219:                              ;   in Loop: Header=BB7_3 Depth=1
	s_or_b64 exec, exec, s[24:25]
	v_lshlrev_b32_e32 v63, 16, v64
	v_add_f32_e32 v65, 0xc3080000, v63
	v_and_b32_e32 v63, 0x7f800000, v65
	v_cmp_ne_u32_e64 s[0:1], s6, v63
                                        ; implicit-def: $vgpr63
	s_and_saveexec_b64 s[24:25], s[0:1]
	s_xor_b64 s[0:1], exec, s[24:25]
; %bb.220:                              ;   in Loop: Header=BB7_3 Depth=1
	v_bfe_u32 v63, v65, 16, 1
	v_add3_u32 v63, v65, v63, s28
                                        ; implicit-def: $vgpr65
; %bb.221:                              ;   in Loop: Header=BB7_3 Depth=1
	s_andn2_saveexec_b64 s[24:25], s[0:1]
; %bb.222:                              ;   in Loop: Header=BB7_3 Depth=1
	v_or_b32_e32 v63, 0x10000, v65
	v_cmp_eq_u32_sdwa s[0:1], v65, v35 src0_sel:WORD_0 src1_sel:DWORD
	v_cndmask_b32_e64 v63, v63, v65, s[0:1]
; %bb.223:                              ;   in Loop: Header=BB7_3 Depth=1
	s_or_b64 exec, exec, s[24:25]
	v_and_b32_e32 v64, 0xffff0000, v64
	v_add_f32_e32 v65, 0xc3080000, v64
	v_and_b32_e32 v64, 0x7f800000, v65
	v_cmp_ne_u32_e64 s[0:1], s6, v64
                                        ; implicit-def: $vgpr64
	s_and_saveexec_b64 s[24:25], s[0:1]
	s_xor_b64 s[0:1], exec, s[24:25]
; %bb.224:                              ;   in Loop: Header=BB7_3 Depth=1
	v_bfe_u32 v64, v65, 16, 1
	v_add3_u32 v64, v65, v64, s28
                                        ; implicit-def: $vgpr65
; %bb.225:                              ;   in Loop: Header=BB7_3 Depth=1
	s_andn2_saveexec_b64 s[24:25], s[0:1]
; %bb.226:                              ;   in Loop: Header=BB7_3 Depth=1
	v_or_b32_e32 v64, 0x10000, v65
	v_cmp_eq_u32_sdwa s[0:1], v65, v35 src0_sel:WORD_0 src1_sel:DWORD
	v_cndmask_b32_e64 v64, v64, v65, s[0:1]
; %bb.227:                              ;   in Loop: Header=BB7_3 Depth=1
	s_or_b64 exec, exec, s[24:25]
	v_lshlrev_b32_e32 v65, 16, v66
	v_add_f32_e32 v67, 0xc3080000, v65
	v_and_b32_e32 v65, 0x7f800000, v67
	v_cmp_ne_u32_e64 s[0:1], s6, v65
                                        ; implicit-def: $vgpr65
	s_and_saveexec_b64 s[24:25], s[0:1]
	s_xor_b64 s[0:1], exec, s[24:25]
; %bb.228:                              ;   in Loop: Header=BB7_3 Depth=1
	v_bfe_u32 v65, v67, 16, 1
	v_add3_u32 v65, v67, v65, s28
                                        ; implicit-def: $vgpr67
; %bb.229:                              ;   in Loop: Header=BB7_3 Depth=1
	s_andn2_saveexec_b64 s[24:25], s[0:1]
; %bb.230:                              ;   in Loop: Header=BB7_3 Depth=1
	v_or_b32_e32 v65, 0x10000, v67
	v_cmp_eq_u32_sdwa s[0:1], v67, v35 src0_sel:WORD_0 src1_sel:DWORD
	v_cndmask_b32_e64 v65, v65, v67, s[0:1]
; %bb.231:                              ;   in Loop: Header=BB7_3 Depth=1
	s_or_b64 exec, exec, s[24:25]
	v_and_b32_e32 v66, 0xffff0000, v66
	v_add_f32_e32 v67, 0xc3080000, v66
	v_and_b32_e32 v66, 0x7f800000, v67
	v_cmp_ne_u32_e64 s[0:1], s6, v66
                                        ; implicit-def: $vgpr66
	s_and_saveexec_b64 s[24:25], s[0:1]
	s_xor_b64 s[0:1], exec, s[24:25]
; %bb.232:                              ;   in Loop: Header=BB7_3 Depth=1
	v_bfe_u32 v66, v67, 16, 1
	v_add3_u32 v66, v67, v66, s28
                                        ; implicit-def: $vgpr67
; %bb.233:                              ;   in Loop: Header=BB7_3 Depth=1
	s_andn2_saveexec_b64 s[24:25], s[0:1]
; %bb.234:                              ;   in Loop: Header=BB7_3 Depth=1
	v_or_b32_e32 v66, 0x10000, v67
	v_cmp_eq_u32_sdwa s[0:1], v67, v35 src0_sel:WORD_0 src1_sel:DWORD
	v_cndmask_b32_e64 v66, v66, v67, s[0:1]
; %bb.235:                              ;   in Loop: Header=BB7_3 Depth=1
	s_or_b64 exec, exec, s[24:25]
	v_and_b32_e32 v23, 0xffff0000, v23
	v_fma_f32 v67, v23, v39, v24
	v_and_b32_e32 v23, 0x7f800000, v67
	v_cmp_ne_u32_e64 s[0:1], s6, v23
                                        ; implicit-def: $vgpr23
	s_and_saveexec_b64 s[24:25], s[0:1]
	s_xor_b64 s[0:1], exec, s[24:25]
; %bb.236:                              ;   in Loop: Header=BB7_3 Depth=1
	v_bfe_u32 v23, v67, 16, 1
	v_add3_u32 v23, v67, v23, s28
                                        ; implicit-def: $vgpr67
; %bb.237:                              ;   in Loop: Header=BB7_3 Depth=1
	s_andn2_saveexec_b64 s[24:25], s[0:1]
; %bb.238:                              ;   in Loop: Header=BB7_3 Depth=1
	v_or_b32_e32 v23, 0x10000, v67
	v_cmp_eq_u32_sdwa s[0:1], v67, v35 src0_sel:WORD_0 src1_sel:DWORD
	v_cndmask_b32_e64 v23, v23, v67, s[0:1]
; %bb.239:                              ;   in Loop: Header=BB7_3 Depth=1
	s_or_b64 exec, exec, s[24:25]
	v_and_b32_e32 v60, 0xffff0000, v60
	v_fma_f32 v67, v60, v39, v24
	v_and_b32_e32 v60, 0x7f800000, v67
	v_cmp_ne_u32_e64 s[0:1], s6, v60
                                        ; implicit-def: $vgpr60
	s_and_saveexec_b64 s[24:25], s[0:1]
	s_xor_b64 s[0:1], exec, s[24:25]
; %bb.240:                              ;   in Loop: Header=BB7_3 Depth=1
	v_bfe_u32 v60, v67, 16, 1
	v_add3_u32 v60, v67, v60, s28
                                        ; implicit-def: $vgpr67
; %bb.241:                              ;   in Loop: Header=BB7_3 Depth=1
	s_andn2_saveexec_b64 s[24:25], s[0:1]
; %bb.242:                              ;   in Loop: Header=BB7_3 Depth=1
	v_or_b32_e32 v60, 0x10000, v67
	v_cmp_eq_u32_sdwa s[0:1], v67, v35 src0_sel:WORD_0 src1_sel:DWORD
	v_cndmask_b32_e64 v60, v60, v67, s[0:1]
; %bb.243:                              ;   in Loop: Header=BB7_3 Depth=1
	s_or_b64 exec, exec, s[24:25]
	v_and_b32_e32 v61, 0xffff0000, v61
	v_fma_f32 v67, v61, v39, v24
	v_and_b32_e32 v61, 0x7f800000, v67
	v_cmp_ne_u32_e64 s[0:1], s6, v61
                                        ; implicit-def: $vgpr61
	s_and_saveexec_b64 s[24:25], s[0:1]
	s_xor_b64 s[0:1], exec, s[24:25]
; %bb.244:                              ;   in Loop: Header=BB7_3 Depth=1
	v_bfe_u32 v61, v67, 16, 1
	v_add3_u32 v61, v67, v61, s28
                                        ; implicit-def: $vgpr67
; %bb.245:                              ;   in Loop: Header=BB7_3 Depth=1
	s_andn2_saveexec_b64 s[24:25], s[0:1]
; %bb.246:                              ;   in Loop: Header=BB7_3 Depth=1
	v_or_b32_e32 v61, 0x10000, v67
	v_cmp_eq_u32_sdwa s[0:1], v67, v35 src0_sel:WORD_0 src1_sel:DWORD
	v_cndmask_b32_e64 v61, v61, v67, s[0:1]
; %bb.247:                              ;   in Loop: Header=BB7_3 Depth=1
	s_or_b64 exec, exec, s[24:25]
	v_and_b32_e32 v62, 0xffff0000, v62
	v_fma_f32 v67, v62, v39, v24
	v_and_b32_e32 v62, 0x7f800000, v67
	v_cmp_ne_u32_e64 s[0:1], s6, v62
                                        ; implicit-def: $vgpr62
	s_and_saveexec_b64 s[24:25], s[0:1]
	s_xor_b64 s[0:1], exec, s[24:25]
; %bb.248:                              ;   in Loop: Header=BB7_3 Depth=1
	v_bfe_u32 v62, v67, 16, 1
	v_add3_u32 v62, v67, v62, s28
                                        ; implicit-def: $vgpr67
; %bb.249:                              ;   in Loop: Header=BB7_3 Depth=1
	s_andn2_saveexec_b64 s[24:25], s[0:1]
; %bb.250:                              ;   in Loop: Header=BB7_3 Depth=1
	v_or_b32_e32 v62, 0x10000, v67
	v_cmp_eq_u32_sdwa s[0:1], v67, v35 src0_sel:WORD_0 src1_sel:DWORD
	v_cndmask_b32_e64 v62, v62, v67, s[0:1]
; %bb.251:                              ;   in Loop: Header=BB7_3 Depth=1
	s_or_b64 exec, exec, s[24:25]
	v_and_b32_e32 v63, 0xffff0000, v63
	v_fma_f32 v67, v63, v39, v24
	v_and_b32_e32 v63, 0x7f800000, v67
	v_cmp_ne_u32_e64 s[0:1], s6, v63
                                        ; implicit-def: $vgpr63
	s_and_saveexec_b64 s[24:25], s[0:1]
	s_xor_b64 s[0:1], exec, s[24:25]
; %bb.252:                              ;   in Loop: Header=BB7_3 Depth=1
	v_bfe_u32 v63, v67, 16, 1
	v_add3_u32 v63, v67, v63, s28
                                        ; implicit-def: $vgpr67
; %bb.253:                              ;   in Loop: Header=BB7_3 Depth=1
	s_andn2_saveexec_b64 s[24:25], s[0:1]
; %bb.254:                              ;   in Loop: Header=BB7_3 Depth=1
	v_or_b32_e32 v63, 0x10000, v67
	v_cmp_eq_u32_sdwa s[0:1], v67, v35 src0_sel:WORD_0 src1_sel:DWORD
	v_cndmask_b32_e64 v63, v63, v67, s[0:1]
; %bb.255:                              ;   in Loop: Header=BB7_3 Depth=1
	s_or_b64 exec, exec, s[24:25]
	v_and_b32_e32 v64, 0xffff0000, v64
	v_fma_f32 v67, v64, v39, v24
	v_and_b32_e32 v64, 0x7f800000, v67
	v_cmp_ne_u32_e64 s[0:1], s6, v64
                                        ; implicit-def: $vgpr64
	s_and_saveexec_b64 s[24:25], s[0:1]
	s_xor_b64 s[0:1], exec, s[24:25]
; %bb.256:                              ;   in Loop: Header=BB7_3 Depth=1
	v_bfe_u32 v64, v67, 16, 1
	v_add3_u32 v64, v67, v64, s28
                                        ; implicit-def: $vgpr67
; %bb.257:                              ;   in Loop: Header=BB7_3 Depth=1
	s_andn2_saveexec_b64 s[24:25], s[0:1]
; %bb.258:                              ;   in Loop: Header=BB7_3 Depth=1
	v_or_b32_e32 v64, 0x10000, v67
	v_cmp_eq_u32_sdwa s[0:1], v67, v35 src0_sel:WORD_0 src1_sel:DWORD
	v_cndmask_b32_e64 v64, v64, v67, s[0:1]
; %bb.259:                              ;   in Loop: Header=BB7_3 Depth=1
	s_or_b64 exec, exec, s[24:25]
	v_and_b32_e32 v65, 0xffff0000, v65
	v_fma_f32 v67, v65, v39, v24
	v_and_b32_e32 v65, 0x7f800000, v67
	v_cmp_ne_u32_e64 s[0:1], s6, v65
                                        ; implicit-def: $vgpr65
	s_and_saveexec_b64 s[24:25], s[0:1]
	s_xor_b64 s[0:1], exec, s[24:25]
; %bb.260:                              ;   in Loop: Header=BB7_3 Depth=1
	v_bfe_u32 v65, v67, 16, 1
	v_add3_u32 v65, v67, v65, s28
                                        ; implicit-def: $vgpr67
; %bb.261:                              ;   in Loop: Header=BB7_3 Depth=1
	s_andn2_saveexec_b64 s[24:25], s[0:1]
; %bb.262:                              ;   in Loop: Header=BB7_3 Depth=1
	v_or_b32_e32 v65, 0x10000, v67
	v_cmp_eq_u32_sdwa s[0:1], v67, v35 src0_sel:WORD_0 src1_sel:DWORD
	v_cndmask_b32_e64 v65, v65, v67, s[0:1]
; %bb.263:                              ;   in Loop: Header=BB7_3 Depth=1
	s_or_b64 exec, exec, s[24:25]
	v_and_b32_e32 v66, 0xffff0000, v66
	v_fmac_f32_e32 v24, v66, v39
	v_and_b32_e32 v39, 0x7f800000, v24
	v_cmp_ne_u32_e64 s[0:1], s6, v39
                                        ; implicit-def: $vgpr39
	s_and_saveexec_b64 s[24:25], s[0:1]
	s_xor_b64 s[0:1], exec, s[24:25]
; %bb.264:                              ;   in Loop: Header=BB7_3 Depth=1
	v_bfe_u32 v39, v24, 16, 1
	v_add3_u32 v39, v24, v39, s28
                                        ; implicit-def: $vgpr24
; %bb.265:                              ;   in Loop: Header=BB7_3 Depth=1
	s_andn2_saveexec_b64 s[24:25], s[0:1]
	s_cbranch_execz .LBB7_2
; %bb.266:                              ;   in Loop: Header=BB7_3 Depth=1
	v_or_b32_e32 v39, 0x10000, v24
	v_cmp_eq_u32_sdwa s[0:1], v24, v35 src0_sel:WORD_0 src1_sel:DWORD
	v_cndmask_b32_e64 v39, v39, v24, s[0:1]
	s_branch .LBB7_2
.LBB7_267:
	s_or_b64 exec, exec, s[10:11]
.LBB7_268:
	s_or_b64 exec, exec, s[4:5]
	v_lshl_add_u32 v14, v28, 2, s19
	v_cmp_gt_u32_e32 vcc, s3, v14
	s_and_saveexec_b64 s[0:1], vcc
	s_cbranch_execz .LBB7_402
; %bb.269:
	v_lshl_or_b32 v8, s8, 4, v29
	v_mul_lo_u32 v6, v8, s18
	v_ashrrev_i32_e32 v7, 31, v6
	v_and_b32_e32 v4, 0xfc, v27
	v_lshlrev_b64 v[6:7], 1, v[6:7]
	v_lshl_add_u32 v4, v14, 4, v4
	v_mov_b32_e32 v5, s21
	v_add_co_u32_e32 v6, vcc, s20, v6
	v_addc_co_u32_e32 v7, vcc, v5, v7, vcc
	v_ashrrev_i32_e32 v5, 31, v4
	v_lshlrev_b64 v[4:5], 1, v[4:5]
	v_add_co_u32_e32 v12, vcc, v6, v4
	v_addc_co_u32_e32 v13, vcc, v7, v5, vcc
	v_cmp_gt_i32_e32 vcc, s16, v8
	v_mov_b32_e32 v4, 0
	v_mov_b32_e32 v10, 0
	;; [unrolled: 1-line block ×5, first 2 shown]
	s_and_saveexec_b64 s[4:5], vcc
	s_cbranch_execz .LBB7_271
; %bb.270:
	global_load_dwordx2 v[10:11], v[12:13], off
	global_load_dwordx2 v[8:9], v[12:13], off offset:32
.LBB7_271:
	s_or_b64 exec, exec, s[4:5]
	v_mov_b32_e32 v5, 0
	v_mov_b32_e32 v6, 0
	;; [unrolled: 1-line block ×3, first 2 shown]
	s_and_saveexec_b64 s[4:5], vcc
	s_cbranch_execz .LBB7_273
; %bb.272:
	global_load_dwordx2 v[4:5], v[12:13], off offset:64
	global_load_dwordx2 v[6:7], v[12:13], off offset:96
.LBB7_273:
	s_or_b64 exec, exec, s[4:5]
	s_lshr_b32 s4, s9, 30
	s_add_i32 s3, s3, s4
	s_lshr_b32 s3, s3, 2
	s_mul_i32 s3, s3, s7
	v_lshrrev_b32_e32 v12, 2, v14
	v_add_u32_e32 v12, s3, v12
	v_ashrrev_i32_e32 v16, 31, v14
	v_lshl_add_u32 v12, v12, 7, v30
	v_lshrrev_b32_e32 v16, 29, v16
	v_ashrrev_i32_e32 v13, 31, v12
	v_add_u32_e32 v14, v14, v16
	v_lshlrev_b64 v[12:13], 2, v[12:13]
	v_lshrrev_b32_e32 v14, 3, v14
	v_mov_b32_e32 v15, s23
	v_add_co_u32_e32 v12, vcc, s22, v12
	v_mul_lo_u32 v14, s2, v14
	v_addc_co_u32_e32 v13, vcc, v15, v13, vcc
	v_lshl_or_b32 v15, s7, 4, v29
	v_lshlrev_b32_e32 v14, 4, v14
	global_load_dwordx2 v[12:13], v[12:13], off
	v_add_lshl_u32 v14, v15, v14, 1
	v_ashrrev_i32_e32 v15, 31, v14
	v_lshlrev_b64 v[14:15], 1, v[14:15]
	v_mov_b32_e32 v16, s13
	v_add_co_u32_e32 v14, vcc, s12, v14
	v_addc_co_u32_e32 v15, vcc, v16, v15, vcc
	global_load_dword v14, v[14:15], off
	v_mov_b32_e32 v15, 0xf000f
	v_mov_b32_e32 v17, 0x43004300
	s_waitcnt vmcnt(1)
	;;#ASMSTART
	v_and_or_b32 v16, v12, v15, v17
	;;#ASMEND
	s_mov_b32 s2, 0x7f800000
	v_lshrrev_b32_e32 v18, 4, v12
	v_lshrrev_b32_e32 v19, 8, v12
	;; [unrolled: 1-line block ×3, first 2 shown]
	;;#ASMSTART
	v_and_or_b32 v18, v18, v15, v17
	;;#ASMEND
	;;#ASMSTART
	v_and_or_b32 v20, v19, v15, v17
	;;#ASMEND
	;; [unrolled: 3-line block ×3, first 2 shown]
	v_lshlrev_b32_e32 v12, 16, v16
	v_add_f32_e32 v17, 0xc3080000, v12
	v_and_b32_e32 v12, 0x7f800000, v17
	v_cmp_ne_u32_e32 vcc, s2, v12
                                        ; implicit-def: $vgpr12
	s_and_saveexec_b64 s[2:3], vcc
	s_xor_b64 s[2:3], exec, s[2:3]
; %bb.274:
	v_bfe_u32 v12, v17, 16, 1
	s_movk_i32 s4, 0x7fff
	v_add3_u32 v12, v17, v12, s4
                                        ; implicit-def: $vgpr17
; %bb.275:
	s_andn2_saveexec_b64 s[2:3], s[2:3]
; %bb.276:
	v_mov_b32_e32 v12, 0
	v_or_b32_e32 v19, 0x10000, v17
	v_cmp_eq_u32_sdwa vcc, v17, v12 src0_sel:WORD_0 src1_sel:DWORD
	v_cndmask_b32_e32 v12, v19, v17, vcc
; %bb.277:
	s_or_b64 exec, exec, s[2:3]
	v_and_b32_e32 v16, 0xffff0000, v16
	v_add_f32_e32 v17, 0xc3080000, v16
	s_mov_b32 s2, 0x7f800000
	v_and_b32_e32 v16, 0x7f800000, v17
	v_cmp_ne_u32_e32 vcc, s2, v16
                                        ; implicit-def: $vgpr16
	s_and_saveexec_b64 s[2:3], vcc
	s_xor_b64 s[2:3], exec, s[2:3]
; %bb.278:
	v_bfe_u32 v16, v17, 16, 1
	s_movk_i32 s4, 0x7fff
	v_add3_u32 v16, v17, v16, s4
                                        ; implicit-def: $vgpr17
; %bb.279:
	s_andn2_saveexec_b64 s[2:3], s[2:3]
; %bb.280:
	v_mov_b32_e32 v16, 0
	v_or_b32_e32 v19, 0x10000, v17
	v_cmp_eq_u32_sdwa vcc, v17, v16 src0_sel:WORD_0 src1_sel:DWORD
	v_cndmask_b32_e32 v16, v19, v17, vcc
; %bb.281:
	s_or_b64 exec, exec, s[2:3]
	v_lshlrev_b32_e32 v17, 16, v18
	v_add_f32_e32 v19, 0xc3080000, v17
	s_mov_b32 s2, 0x7f800000
	v_and_b32_e32 v17, 0x7f800000, v19
	v_cmp_ne_u32_e32 vcc, s2, v17
                                        ; implicit-def: $vgpr17
	s_and_saveexec_b64 s[2:3], vcc
	s_xor_b64 s[2:3], exec, s[2:3]
; %bb.282:
	v_bfe_u32 v17, v19, 16, 1
	s_movk_i32 s4, 0x7fff
	v_add3_u32 v17, v19, v17, s4
                                        ; implicit-def: $vgpr19
; %bb.283:
	s_andn2_saveexec_b64 s[2:3], s[2:3]
; %bb.284:
	v_mov_b32_e32 v17, 0
	v_or_b32_e32 v21, 0x10000, v19
	v_cmp_eq_u32_sdwa vcc, v19, v17 src0_sel:WORD_0 src1_sel:DWORD
	v_cndmask_b32_e32 v17, v21, v19, vcc
; %bb.285:
	s_or_b64 exec, exec, s[2:3]
	v_and_b32_e32 v18, 0xffff0000, v18
	v_add_f32_e32 v19, 0xc3080000, v18
	s_mov_b32 s2, 0x7f800000
	v_and_b32_e32 v18, 0x7f800000, v19
	v_cmp_ne_u32_e32 vcc, s2, v18
                                        ; implicit-def: $vgpr18
	s_and_saveexec_b64 s[2:3], vcc
	s_xor_b64 s[2:3], exec, s[2:3]
; %bb.286:
	v_bfe_u32 v18, v19, 16, 1
	s_movk_i32 s4, 0x7fff
	v_add3_u32 v18, v19, v18, s4
                                        ; implicit-def: $vgpr19
; %bb.287:
	s_andn2_saveexec_b64 s[2:3], s[2:3]
; %bb.288:
	v_mov_b32_e32 v18, 0
	v_or_b32_e32 v21, 0x10000, v19
	v_cmp_eq_u32_sdwa vcc, v19, v18 src0_sel:WORD_0 src1_sel:DWORD
	v_cndmask_b32_e32 v18, v21, v19, vcc
; %bb.289:
	s_or_b64 exec, exec, s[2:3]
	v_lshlrev_b32_e32 v19, 16, v20
	v_add_f32_e32 v21, 0xc3080000, v19
	s_mov_b32 s2, 0x7f800000
	v_and_b32_e32 v19, 0x7f800000, v21
	v_cmp_ne_u32_e32 vcc, s2, v19
                                        ; implicit-def: $vgpr19
	s_and_saveexec_b64 s[2:3], vcc
	s_xor_b64 s[2:3], exec, s[2:3]
; %bb.290:
	v_bfe_u32 v19, v21, 16, 1
	s_movk_i32 s4, 0x7fff
	v_add3_u32 v19, v21, v19, s4
                                        ; implicit-def: $vgpr21
; %bb.291:
	s_andn2_saveexec_b64 s[2:3], s[2:3]
; %bb.292:
	v_mov_b32_e32 v19, 0
	v_or_b32_e32 v22, 0x10000, v21
	v_cmp_eq_u32_sdwa vcc, v21, v19 src0_sel:WORD_0 src1_sel:DWORD
	v_cndmask_b32_e32 v19, v22, v21, vcc
; %bb.293:
	s_or_b64 exec, exec, s[2:3]
	v_and_b32_e32 v20, 0xffff0000, v20
	v_add_f32_e32 v21, 0xc3080000, v20
	s_mov_b32 s2, 0x7f800000
	v_and_b32_e32 v20, 0x7f800000, v21
	v_cmp_ne_u32_e32 vcc, s2, v20
                                        ; implicit-def: $vgpr20
	s_and_saveexec_b64 s[2:3], vcc
	s_xor_b64 s[2:3], exec, s[2:3]
; %bb.294:
	v_bfe_u32 v20, v21, 16, 1
	s_movk_i32 s4, 0x7fff
	v_add3_u32 v20, v21, v20, s4
                                        ; implicit-def: $vgpr21
; %bb.295:
	s_andn2_saveexec_b64 s[2:3], s[2:3]
; %bb.296:
	v_mov_b32_e32 v20, 0
	v_or_b32_e32 v22, 0x10000, v21
	v_cmp_eq_u32_sdwa vcc, v21, v20 src0_sel:WORD_0 src1_sel:DWORD
	v_cndmask_b32_e32 v20, v22, v21, vcc
; %bb.297:
	s_or_b64 exec, exec, s[2:3]
	v_lshlrev_b32_e32 v21, 16, v15
	v_add_f32_e32 v22, 0xc3080000, v21
	s_mov_b32 s2, 0x7f800000
	v_and_b32_e32 v21, 0x7f800000, v22
	v_cmp_ne_u32_e32 vcc, s2, v21
                                        ; implicit-def: $vgpr21
	s_and_saveexec_b64 s[2:3], vcc
	s_xor_b64 s[2:3], exec, s[2:3]
; %bb.298:
	v_bfe_u32 v21, v22, 16, 1
	s_movk_i32 s4, 0x7fff
	v_add3_u32 v21, v22, v21, s4
                                        ; implicit-def: $vgpr22
; %bb.299:
	s_andn2_saveexec_b64 s[2:3], s[2:3]
; %bb.300:
	v_mov_b32_e32 v21, 0
	v_or_b32_e32 v23, 0x10000, v22
	v_cmp_eq_u32_sdwa vcc, v22, v21 src0_sel:WORD_0 src1_sel:DWORD
	v_cndmask_b32_e32 v21, v23, v22, vcc
; %bb.301:
	s_or_b64 exec, exec, s[2:3]
	v_and_b32_e32 v15, 0xffff0000, v15
	v_add_f32_e32 v15, 0xc3080000, v15
	s_mov_b32 s2, 0x7f800000
	v_and_b32_e32 v22, 0x7f800000, v15
	v_cmp_ne_u32_e32 vcc, s2, v22
                                        ; implicit-def: $vgpr22
	s_and_saveexec_b64 s[2:3], vcc
	s_xor_b64 s[2:3], exec, s[2:3]
; %bb.302:
	v_bfe_u32 v22, v15, 16, 1
	s_movk_i32 s4, 0x7fff
	v_add3_u32 v22, v15, v22, s4
                                        ; implicit-def: $vgpr15
; %bb.303:
	s_andn2_saveexec_b64 s[2:3], s[2:3]
; %bb.304:
	v_mov_b32_e32 v22, 0
	v_or_b32_e32 v23, 0x10000, v15
	v_cmp_eq_u32_sdwa vcc, v15, v22 src0_sel:WORD_0 src1_sel:DWORD
	v_cndmask_b32_e32 v22, v23, v15, vcc
; %bb.305:
	s_or_b64 exec, exec, s[2:3]
	v_and_b32_e32 v23, 0xffff0000, v12
	s_waitcnt vmcnt(0)
	v_lshlrev_b32_e32 v15, 16, v14
	v_and_b32_e32 v12, 0xffff0000, v14
	v_fma_f32 v23, v23, v15, v12
	s_mov_b32 s2, 0x7f800000
	v_and_b32_e32 v14, 0x7f800000, v23
	v_cmp_ne_u32_e32 vcc, s2, v14
                                        ; implicit-def: $vgpr14
	s_and_saveexec_b64 s[2:3], vcc
	s_xor_b64 s[2:3], exec, s[2:3]
; %bb.306:
	v_bfe_u32 v14, v23, 16, 1
	s_movk_i32 s4, 0x7fff
	v_add3_u32 v14, v23, v14, s4
                                        ; implicit-def: $vgpr23
; %bb.307:
	s_andn2_saveexec_b64 s[2:3], s[2:3]
; %bb.308:
	v_mov_b32_e32 v14, 0
	v_or_b32_e32 v24, 0x10000, v23
	v_cmp_eq_u32_sdwa vcc, v23, v14 src0_sel:WORD_0 src1_sel:DWORD
	v_cndmask_b32_e32 v14, v24, v23, vcc
; %bb.309:
	s_or_b64 exec, exec, s[2:3]
	v_and_b32_e32 v16, 0xffff0000, v16
	v_fma_f32 v23, v16, v15, v12
	s_mov_b32 s2, 0x7f800000
	v_and_b32_e32 v16, 0x7f800000, v23
	v_cmp_ne_u32_e32 vcc, s2, v16
                                        ; implicit-def: $vgpr16
	s_and_saveexec_b64 s[2:3], vcc
	s_xor_b64 s[2:3], exec, s[2:3]
; %bb.310:
	v_bfe_u32 v16, v23, 16, 1
	s_movk_i32 s4, 0x7fff
	v_add3_u32 v16, v23, v16, s4
                                        ; implicit-def: $vgpr23
; %bb.311:
	s_andn2_saveexec_b64 s[2:3], s[2:3]
; %bb.312:
	v_mov_b32_e32 v16, 0
	v_or_b32_e32 v24, 0x10000, v23
	v_cmp_eq_u32_sdwa vcc, v23, v16 src0_sel:WORD_0 src1_sel:DWORD
	v_cndmask_b32_e32 v16, v24, v23, vcc
; %bb.313:
	s_or_b64 exec, exec, s[2:3]
	v_and_b32_e32 v17, 0xffff0000, v17
	v_fma_f32 v23, v17, v15, v12
	s_mov_b32 s2, 0x7f800000
	v_and_b32_e32 v17, 0x7f800000, v23
	v_cmp_ne_u32_e32 vcc, s2, v17
                                        ; implicit-def: $vgpr17
	s_and_saveexec_b64 s[2:3], vcc
	s_xor_b64 s[2:3], exec, s[2:3]
; %bb.314:
	v_bfe_u32 v17, v23, 16, 1
	s_movk_i32 s4, 0x7fff
	v_add3_u32 v17, v23, v17, s4
                                        ; implicit-def: $vgpr23
; %bb.315:
	s_andn2_saveexec_b64 s[2:3], s[2:3]
; %bb.316:
	v_mov_b32_e32 v17, 0
	v_or_b32_e32 v24, 0x10000, v23
	v_cmp_eq_u32_sdwa vcc, v23, v17 src0_sel:WORD_0 src1_sel:DWORD
	v_cndmask_b32_e32 v17, v24, v23, vcc
; %bb.317:
	s_or_b64 exec, exec, s[2:3]
	v_and_b32_e32 v18, 0xffff0000, v18
	v_fma_f32 v23, v18, v15, v12
	s_mov_b32 s2, 0x7f800000
	v_and_b32_e32 v18, 0x7f800000, v23
	v_cmp_ne_u32_e32 vcc, s2, v18
                                        ; implicit-def: $vgpr18
	s_and_saveexec_b64 s[2:3], vcc
	s_xor_b64 s[2:3], exec, s[2:3]
; %bb.318:
	v_bfe_u32 v18, v23, 16, 1
	s_movk_i32 s4, 0x7fff
	v_add3_u32 v18, v23, v18, s4
                                        ; implicit-def: $vgpr23
; %bb.319:
	s_andn2_saveexec_b64 s[2:3], s[2:3]
; %bb.320:
	v_mov_b32_e32 v18, 0
	v_or_b32_e32 v24, 0x10000, v23
	v_cmp_eq_u32_sdwa vcc, v23, v18 src0_sel:WORD_0 src1_sel:DWORD
	v_cndmask_b32_e32 v18, v24, v23, vcc
; %bb.321:
	s_or_b64 exec, exec, s[2:3]
	v_and_b32_e32 v19, 0xffff0000, v19
	v_fma_f32 v23, v19, v15, v12
	s_mov_b32 s2, 0x7f800000
	v_and_b32_e32 v19, 0x7f800000, v23
	v_cmp_ne_u32_e32 vcc, s2, v19
                                        ; implicit-def: $vgpr19
	s_and_saveexec_b64 s[2:3], vcc
	s_xor_b64 s[2:3], exec, s[2:3]
; %bb.322:
	v_bfe_u32 v19, v23, 16, 1
	s_movk_i32 s4, 0x7fff
	v_add3_u32 v19, v23, v19, s4
                                        ; implicit-def: $vgpr23
; %bb.323:
	s_andn2_saveexec_b64 s[2:3], s[2:3]
; %bb.324:
	v_mov_b32_e32 v19, 0
	v_or_b32_e32 v24, 0x10000, v23
	v_cmp_eq_u32_sdwa vcc, v23, v19 src0_sel:WORD_0 src1_sel:DWORD
	v_cndmask_b32_e32 v19, v24, v23, vcc
; %bb.325:
	s_or_b64 exec, exec, s[2:3]
	v_and_b32_e32 v20, 0xffff0000, v20
	v_fma_f32 v23, v20, v15, v12
	s_mov_b32 s2, 0x7f800000
	v_and_b32_e32 v20, 0x7f800000, v23
	v_cmp_ne_u32_e32 vcc, s2, v20
                                        ; implicit-def: $vgpr20
	s_and_saveexec_b64 s[2:3], vcc
	s_xor_b64 s[2:3], exec, s[2:3]
; %bb.326:
	v_bfe_u32 v20, v23, 16, 1
	s_movk_i32 s4, 0x7fff
	v_add3_u32 v20, v23, v20, s4
                                        ; implicit-def: $vgpr23
; %bb.327:
	s_andn2_saveexec_b64 s[2:3], s[2:3]
; %bb.328:
	v_mov_b32_e32 v20, 0
	v_or_b32_e32 v24, 0x10000, v23
	v_cmp_eq_u32_sdwa vcc, v23, v20 src0_sel:WORD_0 src1_sel:DWORD
	v_cndmask_b32_e32 v20, v24, v23, vcc
; %bb.329:
	s_or_b64 exec, exec, s[2:3]
	v_and_b32_e32 v21, 0xffff0000, v21
	v_fma_f32 v23, v21, v15, v12
	s_mov_b32 s2, 0x7f800000
	v_and_b32_e32 v21, 0x7f800000, v23
	v_cmp_ne_u32_e32 vcc, s2, v21
                                        ; implicit-def: $vgpr21
	s_and_saveexec_b64 s[2:3], vcc
	s_xor_b64 s[2:3], exec, s[2:3]
; %bb.330:
	v_bfe_u32 v21, v23, 16, 1
	s_movk_i32 s4, 0x7fff
	v_add3_u32 v21, v23, v21, s4
                                        ; implicit-def: $vgpr23
; %bb.331:
	s_andn2_saveexec_b64 s[2:3], s[2:3]
; %bb.332:
	v_mov_b32_e32 v21, 0
	v_or_b32_e32 v24, 0x10000, v23
	v_cmp_eq_u32_sdwa vcc, v23, v21 src0_sel:WORD_0 src1_sel:DWORD
	v_cndmask_b32_e32 v21, v24, v23, vcc
; %bb.333:
	s_or_b64 exec, exec, s[2:3]
	v_and_b32_e32 v22, 0xffff0000, v22
	v_fma_f32 v23, v22, v15, v12
	s_mov_b32 s2, 0x7f800000
	v_and_b32_e32 v22, 0x7f800000, v23
	v_cmp_ne_u32_e32 vcc, s2, v22
                                        ; implicit-def: $vgpr22
	s_and_saveexec_b64 s[2:3], vcc
	s_xor_b64 s[2:3], exec, s[2:3]
; %bb.334:
	v_bfe_u32 v22, v23, 16, 1
	s_movk_i32 s4, 0x7fff
	v_add3_u32 v22, v23, v22, s4
                                        ; implicit-def: $vgpr23
; %bb.335:
	s_andn2_saveexec_b64 s[2:3], s[2:3]
; %bb.336:
	v_mov_b32_e32 v22, 0
	v_or_b32_e32 v24, 0x10000, v23
	v_cmp_eq_u32_sdwa vcc, v23, v22 src0_sel:WORD_0 src1_sel:DWORD
	v_cndmask_b32_e32 v22, v24, v23, vcc
; %bb.337:
	s_or_b64 exec, exec, s[2:3]
	v_mov_b32_e32 v24, 0xf000f
	v_mov_b32_e32 v29, 0x43004300
	;;#ASMSTART
	v_and_or_b32 v23, v13, v24, v29
	;;#ASMEND
	v_lshrrev_b32_e32 v25, 4, v13
	v_lshrrev_b32_e32 v30, 8, v13
	;; [unrolled: 1-line block ×3, first 2 shown]
	;;#ASMSTART
	v_and_or_b32 v25, v25, v24, v29
	;;#ASMEND
	;;#ASMSTART
	v_and_or_b32 v30, v30, v24, v29
	;;#ASMEND
	;;#ASMSTART
	v_and_or_b32 v32, v13, v24, v29
	;;#ASMEND
	v_lshlrev_b32_e32 v13, 16, v23
	v_add_f32_e32 v24, 0xc3080000, v13
	s_mov_b32 s2, 0x7f800000
	v_and_b32_e32 v13, 0x7f800000, v24
	v_cmp_ne_u32_e32 vcc, s2, v13
                                        ; implicit-def: $vgpr13
	s_and_saveexec_b64 s[2:3], vcc
	s_xor_b64 s[2:3], exec, s[2:3]
; %bb.338:
	v_bfe_u32 v13, v24, 16, 1
	s_movk_i32 s4, 0x7fff
	v_add3_u32 v13, v24, v13, s4
                                        ; implicit-def: $vgpr24
; %bb.339:
	s_andn2_saveexec_b64 s[2:3], s[2:3]
; %bb.340:
	v_mov_b32_e32 v13, 0
	v_or_b32_e32 v29, 0x10000, v24
	v_cmp_eq_u32_sdwa vcc, v24, v13 src0_sel:WORD_0 src1_sel:DWORD
	v_cndmask_b32_e32 v13, v29, v24, vcc
; %bb.341:
	s_or_b64 exec, exec, s[2:3]
	v_and_b32_e32 v23, 0xffff0000, v23
	v_add_f32_e32 v24, 0xc3080000, v23
	s_mov_b32 s2, 0x7f800000
	v_and_b32_e32 v23, 0x7f800000, v24
	v_cmp_ne_u32_e32 vcc, s2, v23
                                        ; implicit-def: $vgpr23
	s_and_saveexec_b64 s[2:3], vcc
	s_xor_b64 s[2:3], exec, s[2:3]
; %bb.342:
	v_bfe_u32 v23, v24, 16, 1
	s_movk_i32 s4, 0x7fff
	v_add3_u32 v23, v24, v23, s4
                                        ; implicit-def: $vgpr24
; %bb.343:
	s_andn2_saveexec_b64 s[2:3], s[2:3]
; %bb.344:
	v_mov_b32_e32 v23, 0
	v_or_b32_e32 v29, 0x10000, v24
	v_cmp_eq_u32_sdwa vcc, v24, v23 src0_sel:WORD_0 src1_sel:DWORD
	v_cndmask_b32_e32 v23, v29, v24, vcc
; %bb.345:
	s_or_b64 exec, exec, s[2:3]
	v_lshlrev_b32_e32 v24, 16, v25
	v_add_f32_e32 v29, 0xc3080000, v24
	s_mov_b32 s2, 0x7f800000
	v_and_b32_e32 v24, 0x7f800000, v29
	v_cmp_ne_u32_e32 vcc, s2, v24
                                        ; implicit-def: $vgpr24
	s_and_saveexec_b64 s[2:3], vcc
	s_xor_b64 s[2:3], exec, s[2:3]
; %bb.346:
	v_bfe_u32 v24, v29, 16, 1
	s_movk_i32 s4, 0x7fff
	v_add3_u32 v24, v29, v24, s4
                                        ; implicit-def: $vgpr29
; %bb.347:
	s_andn2_saveexec_b64 s[2:3], s[2:3]
; %bb.348:
	v_mov_b32_e32 v24, 0
	v_or_b32_e32 v31, 0x10000, v29
	v_cmp_eq_u32_sdwa vcc, v29, v24 src0_sel:WORD_0 src1_sel:DWORD
	v_cndmask_b32_e32 v24, v31, v29, vcc
; %bb.349:
	s_or_b64 exec, exec, s[2:3]
	v_and_b32_e32 v25, 0xffff0000, v25
	v_add_f32_e32 v29, 0xc3080000, v25
	s_mov_b32 s2, 0x7f800000
	v_and_b32_e32 v25, 0x7f800000, v29
	v_cmp_ne_u32_e32 vcc, s2, v25
                                        ; implicit-def: $vgpr25
	s_and_saveexec_b64 s[2:3], vcc
	s_xor_b64 s[2:3], exec, s[2:3]
; %bb.350:
	v_bfe_u32 v25, v29, 16, 1
	s_movk_i32 s4, 0x7fff
	v_add3_u32 v25, v29, v25, s4
                                        ; implicit-def: $vgpr29
; %bb.351:
	s_andn2_saveexec_b64 s[2:3], s[2:3]
; %bb.352:
	v_mov_b32_e32 v25, 0
	v_or_b32_e32 v31, 0x10000, v29
	v_cmp_eq_u32_sdwa vcc, v29, v25 src0_sel:WORD_0 src1_sel:DWORD
	v_cndmask_b32_e32 v25, v31, v29, vcc
; %bb.353:
	s_or_b64 exec, exec, s[2:3]
	v_lshlrev_b32_e32 v29, 16, v30
	v_add_f32_e32 v31, 0xc3080000, v29
	s_mov_b32 s2, 0x7f800000
	v_and_b32_e32 v29, 0x7f800000, v31
	v_cmp_ne_u32_e32 vcc, s2, v29
                                        ; implicit-def: $vgpr29
	s_and_saveexec_b64 s[2:3], vcc
	s_xor_b64 s[2:3], exec, s[2:3]
; %bb.354:
	v_bfe_u32 v29, v31, 16, 1
	s_movk_i32 s4, 0x7fff
	v_add3_u32 v29, v31, v29, s4
                                        ; implicit-def: $vgpr31
; %bb.355:
	s_andn2_saveexec_b64 s[2:3], s[2:3]
; %bb.356:
	v_mov_b32_e32 v29, 0
	v_or_b32_e32 v33, 0x10000, v31
	v_cmp_eq_u32_sdwa vcc, v31, v29 src0_sel:WORD_0 src1_sel:DWORD
	v_cndmask_b32_e32 v29, v33, v31, vcc
; %bb.357:
	s_or_b64 exec, exec, s[2:3]
	v_and_b32_e32 v30, 0xffff0000, v30
	v_add_f32_e32 v31, 0xc3080000, v30
	s_mov_b32 s2, 0x7f800000
	v_and_b32_e32 v30, 0x7f800000, v31
	v_cmp_ne_u32_e32 vcc, s2, v30
                                        ; implicit-def: $vgpr30
	s_and_saveexec_b64 s[2:3], vcc
	s_xor_b64 s[2:3], exec, s[2:3]
; %bb.358:
	v_bfe_u32 v30, v31, 16, 1
	s_movk_i32 s4, 0x7fff
	v_add3_u32 v30, v31, v30, s4
                                        ; implicit-def: $vgpr31
; %bb.359:
	s_andn2_saveexec_b64 s[2:3], s[2:3]
; %bb.360:
	v_mov_b32_e32 v30, 0
	v_or_b32_e32 v33, 0x10000, v31
	v_cmp_eq_u32_sdwa vcc, v31, v30 src0_sel:WORD_0 src1_sel:DWORD
	v_cndmask_b32_e32 v30, v33, v31, vcc
; %bb.361:
	s_or_b64 exec, exec, s[2:3]
	v_lshlrev_b32_e32 v31, 16, v32
	v_add_f32_e32 v33, 0xc3080000, v31
	s_mov_b32 s2, 0x7f800000
	v_and_b32_e32 v31, 0x7f800000, v33
	v_cmp_ne_u32_e32 vcc, s2, v31
                                        ; implicit-def: $vgpr31
	s_and_saveexec_b64 s[2:3], vcc
	s_xor_b64 s[2:3], exec, s[2:3]
; %bb.362:
	v_bfe_u32 v31, v33, 16, 1
	s_movk_i32 s4, 0x7fff
	v_add3_u32 v31, v33, v31, s4
                                        ; implicit-def: $vgpr33
; %bb.363:
	s_andn2_saveexec_b64 s[2:3], s[2:3]
; %bb.364:
	v_mov_b32_e32 v31, 0
	v_or_b32_e32 v34, 0x10000, v33
	v_cmp_eq_u32_sdwa vcc, v33, v31 src0_sel:WORD_0 src1_sel:DWORD
	v_cndmask_b32_e32 v31, v34, v33, vcc
; %bb.365:
	s_or_b64 exec, exec, s[2:3]
	v_and_b32_e32 v32, 0xffff0000, v32
	v_add_f32_e32 v33, 0xc3080000, v32
	s_mov_b32 s2, 0x7f800000
	v_and_b32_e32 v32, 0x7f800000, v33
	v_cmp_ne_u32_e32 vcc, s2, v32
                                        ; implicit-def: $vgpr32
	s_and_saveexec_b64 s[2:3], vcc
	s_xor_b64 s[2:3], exec, s[2:3]
; %bb.366:
	v_bfe_u32 v32, v33, 16, 1
	s_movk_i32 s4, 0x7fff
	v_add3_u32 v32, v33, v32, s4
                                        ; implicit-def: $vgpr33
; %bb.367:
	s_andn2_saveexec_b64 s[2:3], s[2:3]
; %bb.368:
	v_mov_b32_e32 v32, 0
	v_or_b32_e32 v34, 0x10000, v33
	v_cmp_eq_u32_sdwa vcc, v33, v32 src0_sel:WORD_0 src1_sel:DWORD
	v_cndmask_b32_e32 v32, v34, v33, vcc
; %bb.369:
	s_or_b64 exec, exec, s[2:3]
	v_and_b32_e32 v13, 0xffff0000, v13
	v_fma_f32 v33, v13, v15, v12
	s_mov_b32 s2, 0x7f800000
	v_and_b32_e32 v13, 0x7f800000, v33
	v_cmp_ne_u32_e32 vcc, s2, v13
                                        ; implicit-def: $vgpr13
	s_and_saveexec_b64 s[2:3], vcc
	s_xor_b64 s[2:3], exec, s[2:3]
; %bb.370:
	v_bfe_u32 v13, v33, 16, 1
	s_movk_i32 s4, 0x7fff
	v_add3_u32 v13, v33, v13, s4
                                        ; implicit-def: $vgpr33
; %bb.371:
	s_andn2_saveexec_b64 s[2:3], s[2:3]
; %bb.372:
	v_mov_b32_e32 v13, 0
	v_or_b32_e32 v34, 0x10000, v33
	v_cmp_eq_u32_sdwa vcc, v33, v13 src0_sel:WORD_0 src1_sel:DWORD
	v_cndmask_b32_e32 v13, v34, v33, vcc
; %bb.373:
	s_or_b64 exec, exec, s[2:3]
	v_and_b32_e32 v23, 0xffff0000, v23
	v_fma_f32 v33, v23, v15, v12
	s_mov_b32 s2, 0x7f800000
	v_and_b32_e32 v23, 0x7f800000, v33
	v_cmp_ne_u32_e32 vcc, s2, v23
                                        ; implicit-def: $vgpr23
	s_and_saveexec_b64 s[2:3], vcc
	s_xor_b64 s[2:3], exec, s[2:3]
; %bb.374:
	v_bfe_u32 v23, v33, 16, 1
	s_movk_i32 s4, 0x7fff
	v_add3_u32 v23, v33, v23, s4
                                        ; implicit-def: $vgpr33
; %bb.375:
	s_andn2_saveexec_b64 s[2:3], s[2:3]
; %bb.376:
	v_mov_b32_e32 v23, 0
	v_or_b32_e32 v34, 0x10000, v33
	v_cmp_eq_u32_sdwa vcc, v33, v23 src0_sel:WORD_0 src1_sel:DWORD
	v_cndmask_b32_e32 v23, v34, v33, vcc
; %bb.377:
	s_or_b64 exec, exec, s[2:3]
	v_and_b32_e32 v24, 0xffff0000, v24
	v_fma_f32 v33, v24, v15, v12
	s_mov_b32 s2, 0x7f800000
	v_and_b32_e32 v24, 0x7f800000, v33
	v_cmp_ne_u32_e32 vcc, s2, v24
                                        ; implicit-def: $vgpr24
	s_and_saveexec_b64 s[2:3], vcc
	s_xor_b64 s[2:3], exec, s[2:3]
; %bb.378:
	v_bfe_u32 v24, v33, 16, 1
	s_movk_i32 s4, 0x7fff
	v_add3_u32 v24, v33, v24, s4
                                        ; implicit-def: $vgpr33
; %bb.379:
	s_andn2_saveexec_b64 s[2:3], s[2:3]
; %bb.380:
	v_mov_b32_e32 v24, 0
	v_or_b32_e32 v34, 0x10000, v33
	v_cmp_eq_u32_sdwa vcc, v33, v24 src0_sel:WORD_0 src1_sel:DWORD
	v_cndmask_b32_e32 v24, v34, v33, vcc
; %bb.381:
	s_or_b64 exec, exec, s[2:3]
	v_and_b32_e32 v25, 0xffff0000, v25
	v_fma_f32 v33, v25, v15, v12
	s_mov_b32 s2, 0x7f800000
	v_and_b32_e32 v25, 0x7f800000, v33
	v_cmp_ne_u32_e32 vcc, s2, v25
                                        ; implicit-def: $vgpr25
	s_and_saveexec_b64 s[2:3], vcc
	s_xor_b64 s[2:3], exec, s[2:3]
; %bb.382:
	v_bfe_u32 v25, v33, 16, 1
	s_movk_i32 s4, 0x7fff
	v_add3_u32 v25, v33, v25, s4
                                        ; implicit-def: $vgpr33
; %bb.383:
	s_andn2_saveexec_b64 s[2:3], s[2:3]
; %bb.384:
	v_mov_b32_e32 v25, 0
	v_or_b32_e32 v34, 0x10000, v33
	v_cmp_eq_u32_sdwa vcc, v33, v25 src0_sel:WORD_0 src1_sel:DWORD
	v_cndmask_b32_e32 v25, v34, v33, vcc
; %bb.385:
	s_or_b64 exec, exec, s[2:3]
	v_and_b32_e32 v29, 0xffff0000, v29
	v_fma_f32 v33, v29, v15, v12
	s_mov_b32 s2, 0x7f800000
	v_and_b32_e32 v29, 0x7f800000, v33
	v_cmp_ne_u32_e32 vcc, s2, v29
                                        ; implicit-def: $vgpr29
	s_and_saveexec_b64 s[2:3], vcc
	s_xor_b64 s[2:3], exec, s[2:3]
; %bb.386:
	v_bfe_u32 v29, v33, 16, 1
	s_movk_i32 s4, 0x7fff
	v_add3_u32 v29, v33, v29, s4
                                        ; implicit-def: $vgpr33
; %bb.387:
	s_andn2_saveexec_b64 s[2:3], s[2:3]
; %bb.388:
	v_mov_b32_e32 v29, 0
	v_or_b32_e32 v34, 0x10000, v33
	v_cmp_eq_u32_sdwa vcc, v33, v29 src0_sel:WORD_0 src1_sel:DWORD
	v_cndmask_b32_e32 v29, v34, v33, vcc
; %bb.389:
	s_or_b64 exec, exec, s[2:3]
	v_and_b32_e32 v30, 0xffff0000, v30
	v_fma_f32 v33, v30, v15, v12
	s_mov_b32 s2, 0x7f800000
	v_and_b32_e32 v30, 0x7f800000, v33
	v_cmp_ne_u32_e32 vcc, s2, v30
                                        ; implicit-def: $vgpr30
	s_and_saveexec_b64 s[2:3], vcc
	s_xor_b64 s[2:3], exec, s[2:3]
; %bb.390:
	v_bfe_u32 v30, v33, 16, 1
	s_movk_i32 s4, 0x7fff
	v_add3_u32 v30, v33, v30, s4
                                        ; implicit-def: $vgpr33
; %bb.391:
	s_andn2_saveexec_b64 s[2:3], s[2:3]
; %bb.392:
	v_mov_b32_e32 v30, 0
	v_or_b32_e32 v34, 0x10000, v33
	v_cmp_eq_u32_sdwa vcc, v33, v30 src0_sel:WORD_0 src1_sel:DWORD
	v_cndmask_b32_e32 v30, v34, v33, vcc
; %bb.393:
	s_or_b64 exec, exec, s[2:3]
	v_and_b32_e32 v31, 0xffff0000, v31
	v_fma_f32 v33, v31, v15, v12
	s_mov_b32 s2, 0x7f800000
	v_and_b32_e32 v31, 0x7f800000, v33
	v_cmp_ne_u32_e32 vcc, s2, v31
                                        ; implicit-def: $vgpr31
	s_and_saveexec_b64 s[2:3], vcc
	s_xor_b64 s[2:3], exec, s[2:3]
; %bb.394:
	v_bfe_u32 v31, v33, 16, 1
	s_movk_i32 s4, 0x7fff
	v_add3_u32 v31, v33, v31, s4
                                        ; implicit-def: $vgpr33
; %bb.395:
	s_andn2_saveexec_b64 s[2:3], s[2:3]
; %bb.396:
	v_mov_b32_e32 v31, 0
	v_or_b32_e32 v34, 0x10000, v33
	v_cmp_eq_u32_sdwa vcc, v33, v31 src0_sel:WORD_0 src1_sel:DWORD
	v_cndmask_b32_e32 v31, v34, v33, vcc
; %bb.397:
	s_or_b64 exec, exec, s[2:3]
	v_and_b32_e32 v32, 0xffff0000, v32
	v_fmac_f32_e32 v12, v32, v15
	s_mov_b32 s2, 0x7f800000
	v_and_b32_e32 v15, 0x7f800000, v12
	v_cmp_ne_u32_e32 vcc, s2, v15
                                        ; implicit-def: $vgpr15
	s_and_saveexec_b64 s[2:3], vcc
	s_xor_b64 s[2:3], exec, s[2:3]
; %bb.398:
	v_bfe_u32 v15, v12, 16, 1
	s_movk_i32 s4, 0x7fff
	v_add3_u32 v15, v12, v15, s4
                                        ; implicit-def: $vgpr12
; %bb.399:
	s_andn2_saveexec_b64 s[2:3], s[2:3]
; %bb.400:
	v_mov_b32_e32 v15, 0
	v_or_b32_e32 v32, 0x10000, v12
	v_cmp_eq_u32_sdwa vcc, v12, v15 src0_sel:WORD_0 src1_sel:DWORD
	v_cndmask_b32_e32 v15, v32, v12, vcc
; %bb.401:
	s_or_b64 exec, exec, s[2:3]
	s_mov_b32 s2, 0x3020706
	v_perm_b32 v17, v17, v18, s2
	v_perm_b32 v16, v14, v16, s2
	;; [unrolled: 1-line block ×3, first 2 shown]
	s_nop 0
	v_mfma_f32_16x16x16bf16_1k v[32:35], v[10:11], v[16:17], 0
	v_perm_b32 v11, v21, v22, s2
	v_perm_b32 v10, v19, v20, s2
	;; [unrolled: 1-line block ×5, first 2 shown]
	s_nop 5
	v_pk_add_f32 v[2:3], v[2:3], v[34:35]
	v_mfma_f32_16x16x16bf16_1k v[8:11], v[8:9], v[10:11], 0
	v_pk_add_f32 v[0:1], v[0:1], v[32:33]
	v_mfma_f32_16x16x16bf16_1k v[12:15], v[4:5], v[16:17], 0
	s_nop 7
	s_nop 0
	v_pk_add_f32 v[2:3], v[2:3], v[10:11]
	v_pk_add_f32 v[0:1], v[0:1], v[8:9]
	;; [unrolled: 1-line block ×4, first 2 shown]
	v_mfma_f32_16x16x16bf16_1k v[0:3], v[6:7], v[18:19], 0
	s_nop 7
	s_nop 2
	v_pk_add_f32 v[2:3], v[4:5], v[2:3]
	v_pk_add_f32 v[0:1], v[8:9], v[0:1]
.LBB7_402:
	s_or_b64 exec, exec, s[0:1]
	v_lshlrev_b32_e32 v29, 4, v26
	v_lshl_add_u32 v4, v28, 10, v29
	v_cmp_eq_u32_e32 vcc, 0, v28
	ds_write_b128 v4, v[0:3]
	s_waitcnt lgkmcnt(0)
	s_barrier
	s_and_saveexec_b64 s[0:1], vcc
	s_cbranch_execz .LBB7_427
; %bb.403:
	v_add_u32_e32 v0, 12, v29
	v_add_u32_e32 v1, 0x404, v29
	v_add_u32_e32 v6, 0x804, v29
	v_add_u32_e32 v7, 0xc04, v29
	ds_read2st64_b32 v[2:3], v0 offset1:4
	ds_read2st64_b32 v[4:5], v0 offset0:8 offset1:12
	ds_read2_b32 v[10:11], v29 offset0:1 offset1:2
	ds_read2_b32 v[12:13], v1 offset1:1
	ds_read2_b32 v[14:15], v6 offset1:1
	;; [unrolled: 1-line block ×3, first 2 shown]
	v_add_u32_e32 v1, 0x1004, v29
	ds_read2st64_b32 v[6:7], v0 offset0:16 offset1:20
	v_add_u32_e32 v20, 0x1404, v29
	v_add_u32_e32 v22, 0x1804, v29
	ds_read2st64_b32 v[8:9], v0 offset0:24 offset1:28
	v_add_u32_e32 v0, 0x1c04, v29
	ds_read2_b32 v[18:19], v1 offset1:1
	ds_read2_b32 v[20:21], v20 offset1:1
	;; [unrolled: 1-line block ×4, first 2 shown]
	v_and_b32_e32 v0, 0xfc, v27
	v_lshl_add_u32 v27, s8, 4, v0
	v_mul_lo_u32 v30, v27, s17
	v_ashrrev_i32_e32 v31, 31, v30
	s_lshl_b32 s0, s7, 4
	v_lshlrev_b64 v[30:31], 1, v[30:31]
	v_and_or_b32 v0, v26, 15, s0
	v_mov_b32_e32 v1, s15
	v_add_co_u32_e32 v26, vcc, s14, v30
	v_addc_co_u32_e32 v28, vcc, v1, v31, vcc
	v_ashrrev_i32_e32 v1, 31, v0
	v_lshlrev_b64 v[0:1], 1, v[0:1]
	v_add_co_u32_e32 v0, vcc, v26, v0
	v_addc_co_u32_e32 v1, vcc, v28, v1, vcc
	v_cmp_gt_i32_e32 vcc, s16, v27
	s_and_saveexec_b64 s[0:1], vcc
	s_cbranch_execz .LBB7_409
; %bb.404:
	ds_read2st64_b32 v[30:31], v29 offset1:4
	ds_read2st64_b32 v[32:33], v29 offset0:8 offset1:12
	ds_read2st64_b32 v[34:35], v29 offset0:16 offset1:20
	;; [unrolled: 1-line block ×3, first 2 shown]
	s_mov_b32 s2, 0x7f800000
	s_waitcnt lgkmcnt(3)
	v_add_f32_e32 v26, 0, v30
	v_add_f32_e32 v26, v26, v31
	s_waitcnt lgkmcnt(2)
	v_add_f32_e32 v26, v26, v32
	v_add_f32_e32 v26, v26, v33
	;; [unrolled: 3-line block ×4, first 2 shown]
	v_and_b32_e32 v28, 0x7f800000, v26
	v_cmp_ne_u32_e32 vcc, s2, v28
                                        ; implicit-def: $vgpr28
	s_and_saveexec_b64 s[2:3], vcc
	s_xor_b64 s[2:3], exec, s[2:3]
; %bb.405:
	v_bfe_u32 v28, v26, 16, 1
	s_movk_i32 s4, 0x7fff
	v_add3_u32 v28, v26, v28, s4
                                        ; implicit-def: $vgpr26
; %bb.406:
	s_andn2_saveexec_b64 s[2:3], s[2:3]
; %bb.407:
	v_mov_b32_e32 v28, 0
	v_or_b32_e32 v29, 0x10000, v26
	v_cmp_eq_u32_sdwa vcc, v26, v28 src0_sel:WORD_0 src1_sel:DWORD
	v_cndmask_b32_e32 v28, v29, v26, vcc
; %bb.408:
	s_or_b64 exec, exec, s[2:3]
	global_store_short_d16_hi v[0:1], v28, off
.LBB7_409:
	s_or_b64 exec, exec, s[0:1]
	v_or_b32_e32 v26, 1, v27
	v_cmp_gt_i32_e32 vcc, s16, v26
	s_and_saveexec_b64 s[0:1], vcc
	s_cbranch_execz .LBB7_415
; %bb.410:
	s_waitcnt lgkmcnt(9)
	v_add_f32_e32 v10, 0, v10
	s_waitcnt lgkmcnt(8)
	v_add_f32_e32 v10, v10, v12
	;; [unrolled: 2-line block ×8, first 2 shown]
	s_mov_b32 s2, 0x7f800000
	v_and_b32_e32 v10, 0x7f800000, v12
	v_cmp_ne_u32_e32 vcc, s2, v10
                                        ; implicit-def: $vgpr10
	s_and_saveexec_b64 s[2:3], vcc
	s_xor_b64 s[2:3], exec, s[2:3]
; %bb.411:
	v_bfe_u32 v10, v12, 16, 1
	s_movk_i32 s4, 0x7fff
	v_add3_u32 v10, v12, v10, s4
                                        ; implicit-def: $vgpr12
; %bb.412:
	s_andn2_saveexec_b64 s[2:3], s[2:3]
; %bb.413:
	v_mov_b32_e32 v10, 0
	v_or_b32_e32 v14, 0x10000, v12
	v_cmp_eq_u32_sdwa vcc, v12, v10 src0_sel:WORD_0 src1_sel:DWORD
	v_cndmask_b32_e32 v10, v14, v12, vcc
; %bb.414:
	s_or_b64 exec, exec, s[2:3]
	s_ashr_i32 s3, s17, 31
	s_mov_b32 s2, s17
	s_lshl_b64 s[2:3], s[2:3], 1
	v_mov_b32_e32 v12, s3
	v_add_co_u32_e32 v28, vcc, s2, v0
	v_addc_co_u32_e32 v29, vcc, v1, v12, vcc
	global_store_short_d16_hi v[28:29], v10, off
.LBB7_415:
	s_or_b64 exec, exec, s[0:1]
	s_waitcnt lgkmcnt(9)
	v_or_b32_e32 v10, 2, v27
	v_cmp_gt_i32_e32 vcc, s16, v10
	s_and_saveexec_b64 s[0:1], vcc
	s_cbranch_execz .LBB7_421
; %bb.416:
	v_add_f32_e32 v10, 0, v11
	s_waitcnt lgkmcnt(8)
	v_add_f32_e32 v10, v10, v13
	s_waitcnt lgkmcnt(7)
	;; [unrolled: 2-line block ×7, first 2 shown]
	v_add_f32_e32 v11, v10, v25
	s_mov_b32 s2, 0x7f800000
	v_and_b32_e32 v10, 0x7f800000, v11
	v_cmp_ne_u32_e32 vcc, s2, v10
                                        ; implicit-def: $vgpr10
	s_and_saveexec_b64 s[2:3], vcc
	s_xor_b64 s[2:3], exec, s[2:3]
; %bb.417:
	v_bfe_u32 v10, v11, 16, 1
	s_movk_i32 s4, 0x7fff
	v_add3_u32 v10, v11, v10, s4
                                        ; implicit-def: $vgpr11
; %bb.418:
	s_andn2_saveexec_b64 s[2:3], s[2:3]
; %bb.419:
	v_mov_b32_e32 v10, 0
	v_or_b32_e32 v12, 0x10000, v11
	v_cmp_eq_u32_sdwa vcc, v11, v10 src0_sel:WORD_0 src1_sel:DWORD
	v_cndmask_b32_e32 v10, v12, v11, vcc
; %bb.420:
	s_or_b64 exec, exec, s[2:3]
	s_lshl_b32 s2, s17, 1
	s_ashr_i32 s3, s2, 31
	s_lshl_b64 s[2:3], s[2:3], 1
	v_mov_b32_e32 v11, s3
	v_add_co_u32_e32 v12, vcc, s2, v0
	v_addc_co_u32_e32 v13, vcc, v1, v11, vcc
	global_store_short_d16_hi v[12:13], v10, off
.LBB7_421:
	s_or_b64 exec, exec, s[0:1]
	v_or_b32_e32 v10, 3, v27
	v_cmp_gt_i32_e32 vcc, s16, v10
	s_and_b64 exec, exec, vcc
	s_cbranch_execz .LBB7_427
; %bb.422:
	v_add_f32_e32 v2, 0, v2
	v_add_f32_e32 v2, v2, v3
	;; [unrolled: 1-line block ×4, first 2 shown]
	s_waitcnt lgkmcnt(5)
	v_add_f32_e32 v2, v2, v6
	v_add_f32_e32 v2, v2, v7
	s_waitcnt lgkmcnt(4)
	v_add_f32_e32 v2, v2, v8
	v_add_f32_e32 v3, v2, v9
	s_mov_b32 s0, 0x7f800000
	v_and_b32_e32 v2, 0x7f800000, v3
	v_cmp_ne_u32_e32 vcc, s0, v2
                                        ; implicit-def: $vgpr2
	s_and_saveexec_b64 s[0:1], vcc
	s_xor_b64 s[0:1], exec, s[0:1]
; %bb.423:
	v_bfe_u32 v2, v3, 16, 1
	s_movk_i32 s2, 0x7fff
	v_add3_u32 v2, v3, v2, s2
                                        ; implicit-def: $vgpr3
; %bb.424:
	s_andn2_saveexec_b64 s[0:1], s[0:1]
; %bb.425:
	v_mov_b32_e32 v2, 0
	v_or_b32_e32 v4, 0x10000, v3
	v_cmp_eq_u32_sdwa vcc, v3, v2 src0_sel:WORD_0 src1_sel:DWORD
	v_cndmask_b32_e32 v2, v4, v3, vcc
; %bb.426:
	s_or_b64 exec, exec, s[0:1]
	s_mul_i32 s0, s17, 3
	s_ashr_i32 s1, s0, 31
	s_lshl_b64 s[0:1], s[0:1], 1
	v_mov_b32_e32 v3, s1
	v_add_co_u32_e32 v0, vcc, s0, v0
	v_addc_co_u32_e32 v1, vcc, v1, v3, vcc
	global_store_short_d16_hi v[0:1], v2, off
.LBB7_427:
	s_endpgm
	.section	.rodata,"a",@progbits
	.p2align	6, 0x0
	.amdhsa_kernel _ZN2at6native30tinygemm_m16n8k16_chunk_kernelINS0_10ALayout_RMILNS0_14KReductionTypeE0EEENS0_15BLayout_TC_int4ILi4ELi128EEES4_Li8ELi8EEEvPKvS8_S8_Pviiiiii
		.amdhsa_group_segment_fixed_size 8192
		.amdhsa_private_segment_fixed_size 0
		.amdhsa_kernarg_size 56
		.amdhsa_user_sgpr_count 6
		.amdhsa_user_sgpr_private_segment_buffer 1
		.amdhsa_user_sgpr_dispatch_ptr 0
		.amdhsa_user_sgpr_queue_ptr 0
		.amdhsa_user_sgpr_kernarg_segment_ptr 1
		.amdhsa_user_sgpr_dispatch_id 0
		.amdhsa_user_sgpr_flat_scratch_init 0
		.amdhsa_user_sgpr_kernarg_preload_length 0
		.amdhsa_user_sgpr_kernarg_preload_offset 0
		.amdhsa_user_sgpr_private_segment_size 0
		.amdhsa_uses_dynamic_stack 0
		.amdhsa_system_sgpr_private_segment_wavefront_offset 0
		.amdhsa_system_sgpr_workgroup_id_x 1
		.amdhsa_system_sgpr_workgroup_id_y 1
		.amdhsa_system_sgpr_workgroup_id_z 1
		.amdhsa_system_sgpr_workgroup_info 0
		.amdhsa_system_vgpr_workitem_id 1
		.amdhsa_next_free_vgpr 70
		.amdhsa_next_free_sgpr 30
		.amdhsa_accum_offset 72
		.amdhsa_reserve_vcc 1
		.amdhsa_reserve_flat_scratch 0
		.amdhsa_float_round_mode_32 0
		.amdhsa_float_round_mode_16_64 0
		.amdhsa_float_denorm_mode_32 3
		.amdhsa_float_denorm_mode_16_64 3
		.amdhsa_dx10_clamp 1
		.amdhsa_ieee_mode 1
		.amdhsa_fp16_overflow 0
		.amdhsa_tg_split 0
		.amdhsa_exception_fp_ieee_invalid_op 0
		.amdhsa_exception_fp_denorm_src 0
		.amdhsa_exception_fp_ieee_div_zero 0
		.amdhsa_exception_fp_ieee_overflow 0
		.amdhsa_exception_fp_ieee_underflow 0
		.amdhsa_exception_fp_ieee_inexact 0
		.amdhsa_exception_int_div_zero 0
	.end_amdhsa_kernel
	.section	.text._ZN2at6native30tinygemm_m16n8k16_chunk_kernelINS0_10ALayout_RMILNS0_14KReductionTypeE0EEENS0_15BLayout_TC_int4ILi4ELi128EEES4_Li8ELi8EEEvPKvS8_S8_Pviiiiii,"axG",@progbits,_ZN2at6native30tinygemm_m16n8k16_chunk_kernelINS0_10ALayout_RMILNS0_14KReductionTypeE0EEENS0_15BLayout_TC_int4ILi4ELi128EEES4_Li8ELi8EEEvPKvS8_S8_Pviiiiii,comdat
.Lfunc_end7:
	.size	_ZN2at6native30tinygemm_m16n8k16_chunk_kernelINS0_10ALayout_RMILNS0_14KReductionTypeE0EEENS0_15BLayout_TC_int4ILi4ELi128EEES4_Li8ELi8EEEvPKvS8_S8_Pviiiiii, .Lfunc_end7-_ZN2at6native30tinygemm_m16n8k16_chunk_kernelINS0_10ALayout_RMILNS0_14KReductionTypeE0EEENS0_15BLayout_TC_int4ILi4ELi128EEES4_Li8ELi8EEEvPKvS8_S8_Pviiiiii
                                        ; -- End function
	.section	.AMDGPU.csdata,"",@progbits
; Kernel info:
; codeLenInByte = 11504
; NumSgprs: 34
; NumVgprs: 70
; NumAgprs: 0
; TotalNumVgprs: 70
; ScratchSize: 0
; MemoryBound: 0
; FloatMode: 240
; IeeeMode: 1
; LDSByteSize: 8192 bytes/workgroup (compile time only)
; SGPRBlocks: 4
; VGPRBlocks: 8
; NumSGPRsForWavesPerEU: 34
; NumVGPRsForWavesPerEU: 70
; AccumOffset: 72
; Occupancy: 7
; WaveLimiterHint : 1
; COMPUTE_PGM_RSRC2:SCRATCH_EN: 0
; COMPUTE_PGM_RSRC2:USER_SGPR: 6
; COMPUTE_PGM_RSRC2:TRAP_HANDLER: 0
; COMPUTE_PGM_RSRC2:TGID_X_EN: 1
; COMPUTE_PGM_RSRC2:TGID_Y_EN: 1
; COMPUTE_PGM_RSRC2:TGID_Z_EN: 1
; COMPUTE_PGM_RSRC2:TIDIG_COMP_CNT: 1
; COMPUTE_PGM_RSRC3_GFX90A:ACCUM_OFFSET: 17
; COMPUTE_PGM_RSRC3_GFX90A:TG_SPLIT: 0
	.section	.text._ZN2at6native30tinygemm_m16n8k16_chunk_kernelINS0_10ALayout_RMILNS0_14KReductionTypeE0EEENS0_15BLayout_TC_int4ILi8ELi128EEES4_Li8ELi8EEEvPKvS8_S8_Pviiiiii,"axG",@progbits,_ZN2at6native30tinygemm_m16n8k16_chunk_kernelINS0_10ALayout_RMILNS0_14KReductionTypeE0EEENS0_15BLayout_TC_int4ILi8ELi128EEES4_Li8ELi8EEEvPKvS8_S8_Pviiiiii,comdat
	.protected	_ZN2at6native30tinygemm_m16n8k16_chunk_kernelINS0_10ALayout_RMILNS0_14KReductionTypeE0EEENS0_15BLayout_TC_int4ILi8ELi128EEES4_Li8ELi8EEEvPKvS8_S8_Pviiiiii ; -- Begin function _ZN2at6native30tinygemm_m16n8k16_chunk_kernelINS0_10ALayout_RMILNS0_14KReductionTypeE0EEENS0_15BLayout_TC_int4ILi8ELi128EEES4_Li8ELi8EEEvPKvS8_S8_Pviiiiii
	.globl	_ZN2at6native30tinygemm_m16n8k16_chunk_kernelINS0_10ALayout_RMILNS0_14KReductionTypeE0EEENS0_15BLayout_TC_int4ILi8ELi128EEES4_Li8ELi8EEEvPKvS8_S8_Pviiiiii
	.p2align	8
	.type	_ZN2at6native30tinygemm_m16n8k16_chunk_kernelINS0_10ALayout_RMILNS0_14KReductionTypeE0EEENS0_15BLayout_TC_int4ILi8ELi128EEES4_Li8ELi8EEEvPKvS8_S8_Pviiiiii,@function
_ZN2at6native30tinygemm_m16n8k16_chunk_kernelINS0_10ALayout_RMILNS0_14KReductionTypeE0EEENS0_15BLayout_TC_int4ILi8ELi128EEES4_Li8ELi8EEEvPKvS8_S8_Pviiiiii: ; @_ZN2at6native30tinygemm_m16n8k16_chunk_kernelINS0_10ALayout_RMILNS0_14KReductionTypeE0EEENS0_15BLayout_TC_int4ILi8ELi128EEES4_Li8ELi8EEEvPKvS8_S8_Pviiiiii
; %bb.0:
	s_load_dwordx2 s[2:3], s[4:5], 0x30
	s_load_dwordx4 s[20:23], s[4:5], 0x0
	s_load_dwordx8 s[12:19], s[4:5], 0x10
	v_bfe_u32 v28, v0, 10, 10
	s_mov_b32 s24, 0
	s_waitcnt lgkmcnt(0)
	s_ashr_i32 s0, s3, 31
	s_lshr_b32 s0, s0, 29
	s_add_i32 s0, s3, s0
	v_lshlrev_b32_e32 v31, 3, v28
	s_mov_b32 s25, s24
	v_and_b32_e32 v26, 0x3ff, v0
	s_ashr_i32 s9, s0, 3
	s_and_b32 s19, s0, -8
	v_lshl_add_u32 v32, s6, 6, v31
	s_mov_b32 s26, s24
	s_mov_b32 s27, s24
	v_pk_mov_b32 v[0:1], s[24:25], s[24:25] op_sel:[0,1]
	v_cmp_gt_i32_e32 vcc, s19, v32
	v_pk_mov_b32 v[2:3], s[26:27], s[26:27] op_sel:[0,1]
	s_mul_i32 s9, s9, s7
	v_and_b32_e32 v29, 15, v26
	v_lshrrev_b32_e32 v27, 2, v26
	v_lshlrev_b32_e32 v30, 2, v26
	s_and_saveexec_b64 s[4:5], vcc
	s_cbranch_execz .LBB8_268
; %bb.1:
	v_lshl_or_b32 v2, s8, 4, v29
	v_mul_lo_u32 v0, v2, s18
	v_ashrrev_i32_e32 v1, 31, v0
	v_lshlrev_b64 v[0:1], 1, v[0:1]
	v_mov_b32_e32 v4, s21
	v_add_co_u32_e32 v33, vcc, s20, v0
	v_and_b32_e32 v3, 0xfc, v27
	v_addc_co_u32_e32 v34, vcc, v4, v1, vcc
	s_lshl_b32 s0, s6, 10
	v_lshlrev_b32_e32 v0, 7, v28
	v_mov_b32_e32 v36, 0
	v_cmp_gt_i32_e32 vcc, s16, v2
	v_lshl_or_b32 v35, s7, 4, v29
	s_lshl_b32 s26, s2, 4
	v_add3_u32 v8, s0, v0, v3
	s_mov_b64 s[10:11], 0
	v_mov_b32_e32 v37, 0xf000f
	v_mov_b32_e32 v38, 0x43004300
	s_mov_b32 s6, 0x7f800000
	s_movk_i32 s27, 0x7fff
	s_mov_b32 s28, 0x3020706
	v_mov_b32_e32 v0, 0
	v_mov_b32_e32 v1, v36
	;; [unrolled: 1-line block ×4, first 2 shown]
	s_branch .LBB8_3
.LBB8_2:                                ;   in Loop: Header=BB8_3 Depth=1
	s_or_b64 exec, exec, s[24:25]
	v_perm_b32 v69, v41, v42, s28
	v_perm_b32 v68, v4, v39, s28
	;; [unrolled: 1-line block ×4, first 2 shown]
	v_mfma_f32_16x16x16bf16_1k v[68:71], v[12:13], v[68:69], 0
	v_perm_b32 v13, v45, v46, s28
	v_perm_b32 v12, v43, v44, s28
	;; [unrolled: 1-line block ×6, first 2 shown]
	v_add_u32_e32 v32, 64, v32
	v_mfma_f32_16x16x16bf16_1k v[10:13], v[10:11], v[12:13], 0
	s_nop 2
	v_pk_add_f32 v[2:3], v[2:3], v[70:71]
	v_pk_add_f32 v[0:1], v[0:1], v[68:69]
	v_cmp_le_i32_e64 s[0:1], s19, v32
	s_or_b64 s[10:11], s[0:1], s[10:11]
	v_add_u32_e32 v8, 0x400, v8
	s_nop 2
	v_pk_add_f32 v[2:3], v[2:3], v[12:13]
	v_mfma_f32_16x16x16bf16_1k v[42:45], v[20:21], v[42:43], 0
	v_pk_add_f32 v[0:1], v[0:1], v[10:11]
	v_mfma_f32_16x16x16bf16_1k v[18:21], v[18:19], v[4:5], 0
	v_perm_b32 v5, v55, v56, s28
	v_perm_b32 v4, v6, v54, s28
	s_nop 6
	v_pk_add_f32 v[2:3], v[2:3], v[44:45]
	v_pk_add_f32 v[10:11], v[0:1], v[42:43]
	v_mfma_f32_16x16x16bf16_1k v[46:49], v[14:15], v[4:5], 0
	v_perm_b32 v5, v59, v60, s28
	v_perm_b32 v4, v57, v58, s28
	;; [unrolled: 1-line block ×4, first 2 shown]
	v_pk_add_f32 v[12:13], v[2:3], v[20:21]
	v_pk_add_f32 v[10:11], v[10:11], v[18:19]
	s_nop 4
	v_pk_add_f32 v[12:13], v[12:13], v[48:49]
	v_mfma_f32_16x16x16bf16_1k v[4:7], v[24:25], v[4:5], 0
	v_pk_add_f32 v[10:11], v[10:11], v[46:47]
	v_mfma_f32_16x16x16bf16_1k v[0:3], v[22:23], v[14:15], 0
	s_nop 7
	s_nop 0
	v_pk_add_f32 v[6:7], v[12:13], v[6:7]
	v_pk_add_f32 v[4:5], v[10:11], v[4:5]
	;; [unrolled: 1-line block ×4, first 2 shown]
	v_mfma_f32_16x16x16bf16_1k v[0:3], v[16:17], v[40:41], 0
	s_nop 7
	s_nop 2
	v_pk_add_f32 v[2:3], v[6:7], v[2:3]
	v_pk_add_f32 v[0:1], v[4:5], v[0:1]
	s_andn2_b64 exec, exec, s[10:11]
	s_cbranch_execz .LBB8_267
.LBB8_3:                                ; =>This Inner Loop Header: Depth=1
	v_ashrrev_i32_e32 v9, 31, v8
	v_lshlrev_b64 v[4:5], 1, v[8:9]
	v_add_co_u32_e64 v4, s[0:1], v33, v4
	v_addc_co_u32_e64 v5, s[0:1], v34, v5, s[0:1]
	v_mov_b32_e32 v12, 0
	v_mov_b32_e32 v13, 0
	;; [unrolled: 1-line block ×4, first 2 shown]
	s_and_saveexec_b64 s[0:1], vcc
	s_cbranch_execz .LBB8_5
; %bb.4:                                ;   in Loop: Header=BB8_3 Depth=1
	global_load_dwordx2 v[12:13], v[4:5], off
	global_load_dwordx2 v[10:11], v[4:5], off offset:32
.LBB8_5:                                ;   in Loop: Header=BB8_3 Depth=1
	s_or_b64 exec, exec, s[0:1]
	v_mov_b32_e32 v14, 0
	v_mov_b32_e32 v20, 0
	;; [unrolled: 1-line block ×5, first 2 shown]
	s_and_saveexec_b64 s[0:1], vcc
	s_cbranch_execz .LBB8_7
; %bb.6:                                ;   in Loop: Header=BB8_3 Depth=1
	global_load_dwordx2 v[20:21], v[4:5], off offset:64
	global_load_dwordx2 v[18:19], v[4:5], off offset:96
.LBB8_7:                                ;   in Loop: Header=BB8_3 Depth=1
	s_or_b64 exec, exec, s[0:1]
	v_mov_b32_e32 v15, 0
	v_mov_b32_e32 v24, 0
	;; [unrolled: 1-line block ×3, first 2 shown]
	s_and_saveexec_b64 s[0:1], vcc
	s_cbranch_execz .LBB8_9
; %bb.8:                                ;   in Loop: Header=BB8_3 Depth=1
	global_load_dwordx2 v[14:15], v[4:5], off offset:128
	global_load_dwordx2 v[24:25], v[4:5], off offset:160
.LBB8_9:                                ;   in Loop: Header=BB8_3 Depth=1
	s_or_b64 exec, exec, s[0:1]
	v_mov_b32_e32 v22, 0
	v_mov_b32_e32 v23, 0
	;; [unrolled: 1-line block ×4, first 2 shown]
	s_and_saveexec_b64 s[0:1], vcc
	s_cbranch_execz .LBB8_11
; %bb.10:                               ;   in Loop: Header=BB8_3 Depth=1
	global_load_dwordx2 v[22:23], v[4:5], off offset:192
	global_load_dwordx2 v[16:17], v[4:5], off offset:224
.LBB8_11:                               ;   in Loop: Header=BB8_3 Depth=1
	s_or_b64 exec, exec, s[0:1]
	v_ashrrev_i32_e32 v9, 3, v32
	v_add_u32_e32 v4, s9, v9
	v_lshl_add_u32 v4, v4, 8, v30
	v_ashrrev_i32_e32 v5, 31, v4
	v_lshlrev_b64 v[4:5], 2, v[4:5]
	v_mov_b32_e32 v6, s23
	v_add_co_u32_e64 v4, s[0:1], s22, v4
	v_addc_co_u32_e64 v5, s[0:1], v6, v5, s[0:1]
	v_mul_lo_u32 v9, s26, v9
	global_load_dwordx4 v[4:7], v[4:5], off
	v_add_lshl_u32 v40, v35, v9, 1
	v_ashrrev_i32_e32 v41, 31, v40
	v_lshlrev_b64 v[40:41], 1, v[40:41]
	v_mov_b32_e32 v9, s13
	v_add_co_u32_e64 v40, s[0:1], s12, v40
	v_addc_co_u32_e64 v41, s[0:1], v9, v41, s[0:1]
	global_load_dword v9, v[40:41], off
	s_waitcnt vmcnt(1)
	;;#ASMSTART
	v_and_or_b32 v39, v4, v37, v38
	;;#ASMEND
	v_lshrrev_b32_e32 v40, 4, v4
	v_lshrrev_b32_e32 v41, 8, v4
	;; [unrolled: 1-line block ×3, first 2 shown]
	;;#ASMSTART
	v_and_or_b32 v42, v40, v37, v38
	;;#ASMEND
	;;#ASMSTART
	v_and_or_b32 v44, v41, v37, v38
	;;#ASMEND
	;; [unrolled: 3-line block ×3, first 2 shown]
	v_lshlrev_b32_e32 v4, 16, v39
	v_add_f32_e32 v41, 0xc3080000, v4
	v_and_b32_e32 v4, 0x7f800000, v41
	v_cmp_ne_u32_e64 s[0:1], s6, v4
                                        ; implicit-def: $vgpr4
	s_and_saveexec_b64 s[24:25], s[0:1]
	s_xor_b64 s[0:1], exec, s[24:25]
; %bb.12:                               ;   in Loop: Header=BB8_3 Depth=1
	v_bfe_u32 v4, v41, 16, 1
	v_add3_u32 v4, v41, v4, s27
                                        ; implicit-def: $vgpr41
; %bb.13:                               ;   in Loop: Header=BB8_3 Depth=1
	s_andn2_saveexec_b64 s[24:25], s[0:1]
; %bb.14:                               ;   in Loop: Header=BB8_3 Depth=1
	v_or_b32_e32 v4, 0x10000, v41
	v_cmp_eq_u32_sdwa s[0:1], v41, v36 src0_sel:WORD_0 src1_sel:DWORD
	v_cndmask_b32_e64 v4, v4, v41, s[0:1]
; %bb.15:                               ;   in Loop: Header=BB8_3 Depth=1
	s_or_b64 exec, exec, s[24:25]
	v_and_b32_e32 v39, 0xffff0000, v39
	v_add_f32_e32 v41, 0xc3080000, v39
	v_and_b32_e32 v39, 0x7f800000, v41
	v_cmp_ne_u32_e64 s[0:1], s6, v39
                                        ; implicit-def: $vgpr39
	s_and_saveexec_b64 s[24:25], s[0:1]
	s_xor_b64 s[0:1], exec, s[24:25]
; %bb.16:                               ;   in Loop: Header=BB8_3 Depth=1
	v_bfe_u32 v39, v41, 16, 1
	v_add3_u32 v39, v41, v39, s27
                                        ; implicit-def: $vgpr41
; %bb.17:                               ;   in Loop: Header=BB8_3 Depth=1
	s_andn2_saveexec_b64 s[24:25], s[0:1]
; %bb.18:                               ;   in Loop: Header=BB8_3 Depth=1
	v_or_b32_e32 v39, 0x10000, v41
	v_cmp_eq_u32_sdwa s[0:1], v41, v36 src0_sel:WORD_0 src1_sel:DWORD
	v_cndmask_b32_e64 v39, v39, v41, s[0:1]
; %bb.19:                               ;   in Loop: Header=BB8_3 Depth=1
	s_or_b64 exec, exec, s[24:25]
	v_lshlrev_b32_e32 v41, 16, v42
	v_add_f32_e32 v43, 0xc3080000, v41
	v_and_b32_e32 v41, 0x7f800000, v43
	v_cmp_ne_u32_e64 s[0:1], s6, v41
                                        ; implicit-def: $vgpr41
	s_and_saveexec_b64 s[24:25], s[0:1]
	s_xor_b64 s[0:1], exec, s[24:25]
; %bb.20:                               ;   in Loop: Header=BB8_3 Depth=1
	v_bfe_u32 v41, v43, 16, 1
	v_add3_u32 v41, v43, v41, s27
                                        ; implicit-def: $vgpr43
; %bb.21:                               ;   in Loop: Header=BB8_3 Depth=1
	s_andn2_saveexec_b64 s[24:25], s[0:1]
; %bb.22:                               ;   in Loop: Header=BB8_3 Depth=1
	v_or_b32_e32 v41, 0x10000, v43
	v_cmp_eq_u32_sdwa s[0:1], v43, v36 src0_sel:WORD_0 src1_sel:DWORD
	v_cndmask_b32_e64 v41, v41, v43, s[0:1]
; %bb.23:                               ;   in Loop: Header=BB8_3 Depth=1
	s_or_b64 exec, exec, s[24:25]
	v_and_b32_e32 v42, 0xffff0000, v42
	v_add_f32_e32 v43, 0xc3080000, v42
	v_and_b32_e32 v42, 0x7f800000, v43
	v_cmp_ne_u32_e64 s[0:1], s6, v42
                                        ; implicit-def: $vgpr42
	s_and_saveexec_b64 s[24:25], s[0:1]
	s_xor_b64 s[0:1], exec, s[24:25]
; %bb.24:                               ;   in Loop: Header=BB8_3 Depth=1
	v_bfe_u32 v42, v43, 16, 1
	v_add3_u32 v42, v43, v42, s27
                                        ; implicit-def: $vgpr43
; %bb.25:                               ;   in Loop: Header=BB8_3 Depth=1
	s_andn2_saveexec_b64 s[24:25], s[0:1]
; %bb.26:                               ;   in Loop: Header=BB8_3 Depth=1
	v_or_b32_e32 v42, 0x10000, v43
	v_cmp_eq_u32_sdwa s[0:1], v43, v36 src0_sel:WORD_0 src1_sel:DWORD
	v_cndmask_b32_e64 v42, v42, v43, s[0:1]
; %bb.27:                               ;   in Loop: Header=BB8_3 Depth=1
	s_or_b64 exec, exec, s[24:25]
	v_lshlrev_b32_e32 v43, 16, v44
	v_add_f32_e32 v45, 0xc3080000, v43
	v_and_b32_e32 v43, 0x7f800000, v45
	v_cmp_ne_u32_e64 s[0:1], s6, v43
                                        ; implicit-def: $vgpr43
	s_and_saveexec_b64 s[24:25], s[0:1]
	s_xor_b64 s[0:1], exec, s[24:25]
; %bb.28:                               ;   in Loop: Header=BB8_3 Depth=1
	v_bfe_u32 v43, v45, 16, 1
	v_add3_u32 v43, v45, v43, s27
                                        ; implicit-def: $vgpr45
; %bb.29:                               ;   in Loop: Header=BB8_3 Depth=1
	s_andn2_saveexec_b64 s[24:25], s[0:1]
; %bb.30:                               ;   in Loop: Header=BB8_3 Depth=1
	v_or_b32_e32 v43, 0x10000, v45
	v_cmp_eq_u32_sdwa s[0:1], v45, v36 src0_sel:WORD_0 src1_sel:DWORD
	v_cndmask_b32_e64 v43, v43, v45, s[0:1]
; %bb.31:                               ;   in Loop: Header=BB8_3 Depth=1
	s_or_b64 exec, exec, s[24:25]
	v_and_b32_e32 v44, 0xffff0000, v44
	v_add_f32_e32 v45, 0xc3080000, v44
	v_and_b32_e32 v44, 0x7f800000, v45
	v_cmp_ne_u32_e64 s[0:1], s6, v44
                                        ; implicit-def: $vgpr44
	s_and_saveexec_b64 s[24:25], s[0:1]
	s_xor_b64 s[0:1], exec, s[24:25]
; %bb.32:                               ;   in Loop: Header=BB8_3 Depth=1
	v_bfe_u32 v44, v45, 16, 1
	v_add3_u32 v44, v45, v44, s27
                                        ; implicit-def: $vgpr45
; %bb.33:                               ;   in Loop: Header=BB8_3 Depth=1
	s_andn2_saveexec_b64 s[24:25], s[0:1]
; %bb.34:                               ;   in Loop: Header=BB8_3 Depth=1
	v_or_b32_e32 v44, 0x10000, v45
	v_cmp_eq_u32_sdwa s[0:1], v45, v36 src0_sel:WORD_0 src1_sel:DWORD
	v_cndmask_b32_e64 v44, v44, v45, s[0:1]
; %bb.35:                               ;   in Loop: Header=BB8_3 Depth=1
	s_or_b64 exec, exec, s[24:25]
	v_lshlrev_b32_e32 v45, 16, v40
	v_add_f32_e32 v46, 0xc3080000, v45
	v_and_b32_e32 v45, 0x7f800000, v46
	v_cmp_ne_u32_e64 s[0:1], s6, v45
                                        ; implicit-def: $vgpr45
	s_and_saveexec_b64 s[24:25], s[0:1]
	s_xor_b64 s[0:1], exec, s[24:25]
; %bb.36:                               ;   in Loop: Header=BB8_3 Depth=1
	v_bfe_u32 v45, v46, 16, 1
	v_add3_u32 v45, v46, v45, s27
                                        ; implicit-def: $vgpr46
; %bb.37:                               ;   in Loop: Header=BB8_3 Depth=1
	s_andn2_saveexec_b64 s[24:25], s[0:1]
; %bb.38:                               ;   in Loop: Header=BB8_3 Depth=1
	v_or_b32_e32 v45, 0x10000, v46
	v_cmp_eq_u32_sdwa s[0:1], v46, v36 src0_sel:WORD_0 src1_sel:DWORD
	v_cndmask_b32_e64 v45, v45, v46, s[0:1]
; %bb.39:                               ;   in Loop: Header=BB8_3 Depth=1
	s_or_b64 exec, exec, s[24:25]
	v_and_b32_e32 v40, 0xffff0000, v40
	v_add_f32_e32 v40, 0xc3080000, v40
	v_and_b32_e32 v46, 0x7f800000, v40
	v_cmp_ne_u32_e64 s[0:1], s6, v46
                                        ; implicit-def: $vgpr46
	s_and_saveexec_b64 s[24:25], s[0:1]
	s_xor_b64 s[0:1], exec, s[24:25]
; %bb.40:                               ;   in Loop: Header=BB8_3 Depth=1
	v_bfe_u32 v46, v40, 16, 1
	v_add3_u32 v46, v40, v46, s27
                                        ; implicit-def: $vgpr40
; %bb.41:                               ;   in Loop: Header=BB8_3 Depth=1
	s_andn2_saveexec_b64 s[24:25], s[0:1]
; %bb.42:                               ;   in Loop: Header=BB8_3 Depth=1
	v_or_b32_e32 v46, 0x10000, v40
	v_cmp_eq_u32_sdwa s[0:1], v40, v36 src0_sel:WORD_0 src1_sel:DWORD
	v_cndmask_b32_e64 v46, v46, v40, s[0:1]
; %bb.43:                               ;   in Loop: Header=BB8_3 Depth=1
	s_or_b64 exec, exec, s[24:25]
	v_and_b32_e32 v4, 0xffff0000, v4
	s_waitcnt vmcnt(0)
	v_lshlrev_b32_e32 v40, 16, v9
	v_and_b32_e32 v9, 0xffff0000, v9
	v_fma_f32 v47, v4, v40, v9
	v_and_b32_e32 v4, 0x7f800000, v47
	v_cmp_ne_u32_e64 s[0:1], s6, v4
                                        ; implicit-def: $vgpr4
	s_and_saveexec_b64 s[24:25], s[0:1]
	s_xor_b64 s[0:1], exec, s[24:25]
; %bb.44:                               ;   in Loop: Header=BB8_3 Depth=1
	v_bfe_u32 v4, v47, 16, 1
	v_add3_u32 v4, v47, v4, s27
                                        ; implicit-def: $vgpr47
; %bb.45:                               ;   in Loop: Header=BB8_3 Depth=1
	s_andn2_saveexec_b64 s[24:25], s[0:1]
; %bb.46:                               ;   in Loop: Header=BB8_3 Depth=1
	v_or_b32_e32 v4, 0x10000, v47
	v_cmp_eq_u32_sdwa s[0:1], v47, v36 src0_sel:WORD_0 src1_sel:DWORD
	v_cndmask_b32_e64 v4, v4, v47, s[0:1]
; %bb.47:                               ;   in Loop: Header=BB8_3 Depth=1
	s_or_b64 exec, exec, s[24:25]
	v_and_b32_e32 v39, 0xffff0000, v39
	v_fma_f32 v47, v39, v40, v9
	v_and_b32_e32 v39, 0x7f800000, v47
	v_cmp_ne_u32_e64 s[0:1], s6, v39
                                        ; implicit-def: $vgpr39
	s_and_saveexec_b64 s[24:25], s[0:1]
	s_xor_b64 s[0:1], exec, s[24:25]
; %bb.48:                               ;   in Loop: Header=BB8_3 Depth=1
	v_bfe_u32 v39, v47, 16, 1
	v_add3_u32 v39, v47, v39, s27
                                        ; implicit-def: $vgpr47
; %bb.49:                               ;   in Loop: Header=BB8_3 Depth=1
	s_andn2_saveexec_b64 s[24:25], s[0:1]
; %bb.50:                               ;   in Loop: Header=BB8_3 Depth=1
	v_or_b32_e32 v39, 0x10000, v47
	v_cmp_eq_u32_sdwa s[0:1], v47, v36 src0_sel:WORD_0 src1_sel:DWORD
	v_cndmask_b32_e64 v39, v39, v47, s[0:1]
; %bb.51:                               ;   in Loop: Header=BB8_3 Depth=1
	s_or_b64 exec, exec, s[24:25]
	v_and_b32_e32 v41, 0xffff0000, v41
	v_fma_f32 v47, v41, v40, v9
	v_and_b32_e32 v41, 0x7f800000, v47
	v_cmp_ne_u32_e64 s[0:1], s6, v41
                                        ; implicit-def: $vgpr41
	s_and_saveexec_b64 s[24:25], s[0:1]
	s_xor_b64 s[0:1], exec, s[24:25]
; %bb.52:                               ;   in Loop: Header=BB8_3 Depth=1
	v_bfe_u32 v41, v47, 16, 1
	v_add3_u32 v41, v47, v41, s27
                                        ; implicit-def: $vgpr47
; %bb.53:                               ;   in Loop: Header=BB8_3 Depth=1
	s_andn2_saveexec_b64 s[24:25], s[0:1]
; %bb.54:                               ;   in Loop: Header=BB8_3 Depth=1
	v_or_b32_e32 v41, 0x10000, v47
	v_cmp_eq_u32_sdwa s[0:1], v47, v36 src0_sel:WORD_0 src1_sel:DWORD
	v_cndmask_b32_e64 v41, v41, v47, s[0:1]
; %bb.55:                               ;   in Loop: Header=BB8_3 Depth=1
	s_or_b64 exec, exec, s[24:25]
	v_and_b32_e32 v42, 0xffff0000, v42
	v_fma_f32 v47, v42, v40, v9
	v_and_b32_e32 v42, 0x7f800000, v47
	v_cmp_ne_u32_e64 s[0:1], s6, v42
                                        ; implicit-def: $vgpr42
	s_and_saveexec_b64 s[24:25], s[0:1]
	s_xor_b64 s[0:1], exec, s[24:25]
; %bb.56:                               ;   in Loop: Header=BB8_3 Depth=1
	v_bfe_u32 v42, v47, 16, 1
	v_add3_u32 v42, v47, v42, s27
                                        ; implicit-def: $vgpr47
; %bb.57:                               ;   in Loop: Header=BB8_3 Depth=1
	s_andn2_saveexec_b64 s[24:25], s[0:1]
; %bb.58:                               ;   in Loop: Header=BB8_3 Depth=1
	v_or_b32_e32 v42, 0x10000, v47
	v_cmp_eq_u32_sdwa s[0:1], v47, v36 src0_sel:WORD_0 src1_sel:DWORD
	v_cndmask_b32_e64 v42, v42, v47, s[0:1]
; %bb.59:                               ;   in Loop: Header=BB8_3 Depth=1
	s_or_b64 exec, exec, s[24:25]
	v_and_b32_e32 v43, 0xffff0000, v43
	v_fma_f32 v47, v43, v40, v9
	v_and_b32_e32 v43, 0x7f800000, v47
	v_cmp_ne_u32_e64 s[0:1], s6, v43
                                        ; implicit-def: $vgpr43
	s_and_saveexec_b64 s[24:25], s[0:1]
	s_xor_b64 s[0:1], exec, s[24:25]
; %bb.60:                               ;   in Loop: Header=BB8_3 Depth=1
	v_bfe_u32 v43, v47, 16, 1
	v_add3_u32 v43, v47, v43, s27
                                        ; implicit-def: $vgpr47
; %bb.61:                               ;   in Loop: Header=BB8_3 Depth=1
	s_andn2_saveexec_b64 s[24:25], s[0:1]
; %bb.62:                               ;   in Loop: Header=BB8_3 Depth=1
	v_or_b32_e32 v43, 0x10000, v47
	v_cmp_eq_u32_sdwa s[0:1], v47, v36 src0_sel:WORD_0 src1_sel:DWORD
	v_cndmask_b32_e64 v43, v43, v47, s[0:1]
; %bb.63:                               ;   in Loop: Header=BB8_3 Depth=1
	s_or_b64 exec, exec, s[24:25]
	v_and_b32_e32 v44, 0xffff0000, v44
	v_fma_f32 v47, v44, v40, v9
	v_and_b32_e32 v44, 0x7f800000, v47
	v_cmp_ne_u32_e64 s[0:1], s6, v44
                                        ; implicit-def: $vgpr44
	s_and_saveexec_b64 s[24:25], s[0:1]
	s_xor_b64 s[0:1], exec, s[24:25]
; %bb.64:                               ;   in Loop: Header=BB8_3 Depth=1
	v_bfe_u32 v44, v47, 16, 1
	v_add3_u32 v44, v47, v44, s27
                                        ; implicit-def: $vgpr47
; %bb.65:                               ;   in Loop: Header=BB8_3 Depth=1
	s_andn2_saveexec_b64 s[24:25], s[0:1]
; %bb.66:                               ;   in Loop: Header=BB8_3 Depth=1
	v_or_b32_e32 v44, 0x10000, v47
	v_cmp_eq_u32_sdwa s[0:1], v47, v36 src0_sel:WORD_0 src1_sel:DWORD
	v_cndmask_b32_e64 v44, v44, v47, s[0:1]
; %bb.67:                               ;   in Loop: Header=BB8_3 Depth=1
	s_or_b64 exec, exec, s[24:25]
	v_and_b32_e32 v45, 0xffff0000, v45
	v_fma_f32 v47, v45, v40, v9
	v_and_b32_e32 v45, 0x7f800000, v47
	v_cmp_ne_u32_e64 s[0:1], s6, v45
                                        ; implicit-def: $vgpr45
	s_and_saveexec_b64 s[24:25], s[0:1]
	s_xor_b64 s[0:1], exec, s[24:25]
; %bb.68:                               ;   in Loop: Header=BB8_3 Depth=1
	v_bfe_u32 v45, v47, 16, 1
	v_add3_u32 v45, v47, v45, s27
                                        ; implicit-def: $vgpr47
; %bb.69:                               ;   in Loop: Header=BB8_3 Depth=1
	s_andn2_saveexec_b64 s[24:25], s[0:1]
; %bb.70:                               ;   in Loop: Header=BB8_3 Depth=1
	v_or_b32_e32 v45, 0x10000, v47
	v_cmp_eq_u32_sdwa s[0:1], v47, v36 src0_sel:WORD_0 src1_sel:DWORD
	v_cndmask_b32_e64 v45, v45, v47, s[0:1]
; %bb.71:                               ;   in Loop: Header=BB8_3 Depth=1
	s_or_b64 exec, exec, s[24:25]
	v_and_b32_e32 v46, 0xffff0000, v46
	v_fma_f32 v47, v46, v40, v9
	v_and_b32_e32 v46, 0x7f800000, v47
	v_cmp_ne_u32_e64 s[0:1], s6, v46
                                        ; implicit-def: $vgpr46
	s_and_saveexec_b64 s[24:25], s[0:1]
	s_xor_b64 s[0:1], exec, s[24:25]
; %bb.72:                               ;   in Loop: Header=BB8_3 Depth=1
	v_bfe_u32 v46, v47, 16, 1
	v_add3_u32 v46, v47, v46, s27
                                        ; implicit-def: $vgpr47
; %bb.73:                               ;   in Loop: Header=BB8_3 Depth=1
	s_andn2_saveexec_b64 s[24:25], s[0:1]
; %bb.74:                               ;   in Loop: Header=BB8_3 Depth=1
	v_or_b32_e32 v46, 0x10000, v47
	v_cmp_eq_u32_sdwa s[0:1], v47, v36 src0_sel:WORD_0 src1_sel:DWORD
	v_cndmask_b32_e64 v46, v46, v47, s[0:1]
; %bb.75:                               ;   in Loop: Header=BB8_3 Depth=1
	s_or_b64 exec, exec, s[24:25]
	v_lshrrev_b32_e32 v48, 4, v5
	;;#ASMSTART
	v_and_or_b32 v47, v5, v37, v38
	;;#ASMEND
	;;#ASMSTART
	v_and_or_b32 v49, v48, v37, v38
	;;#ASMEND
	v_lshrrev_b32_e32 v48, 8, v5
	v_lshrrev_b32_e32 v5, 12, v5
	;;#ASMSTART
	v_and_or_b32 v51, v48, v37, v38
	;;#ASMEND
	;;#ASMSTART
	v_and_or_b32 v53, v5, v37, v38
	;;#ASMEND
	v_lshlrev_b32_e32 v5, 16, v47
	v_add_f32_e32 v48, 0xc3080000, v5
	v_and_b32_e32 v5, 0x7f800000, v48
	v_cmp_ne_u32_e64 s[0:1], s6, v5
                                        ; implicit-def: $vgpr5
	s_and_saveexec_b64 s[24:25], s[0:1]
	s_xor_b64 s[0:1], exec, s[24:25]
; %bb.76:                               ;   in Loop: Header=BB8_3 Depth=1
	v_bfe_u32 v5, v48, 16, 1
	v_add3_u32 v5, v48, v5, s27
                                        ; implicit-def: $vgpr48
; %bb.77:                               ;   in Loop: Header=BB8_3 Depth=1
	s_andn2_saveexec_b64 s[24:25], s[0:1]
; %bb.78:                               ;   in Loop: Header=BB8_3 Depth=1
	v_or_b32_e32 v5, 0x10000, v48
	v_cmp_eq_u32_sdwa s[0:1], v48, v36 src0_sel:WORD_0 src1_sel:DWORD
	v_cndmask_b32_e64 v5, v5, v48, s[0:1]
; %bb.79:                               ;   in Loop: Header=BB8_3 Depth=1
	s_or_b64 exec, exec, s[24:25]
	v_and_b32_e32 v47, 0xffff0000, v47
	v_add_f32_e32 v48, 0xc3080000, v47
	v_and_b32_e32 v47, 0x7f800000, v48
	v_cmp_ne_u32_e64 s[0:1], s6, v47
                                        ; implicit-def: $vgpr47
	s_and_saveexec_b64 s[24:25], s[0:1]
	s_xor_b64 s[0:1], exec, s[24:25]
; %bb.80:                               ;   in Loop: Header=BB8_3 Depth=1
	v_bfe_u32 v47, v48, 16, 1
	v_add3_u32 v47, v48, v47, s27
                                        ; implicit-def: $vgpr48
; %bb.81:                               ;   in Loop: Header=BB8_3 Depth=1
	s_andn2_saveexec_b64 s[24:25], s[0:1]
; %bb.82:                               ;   in Loop: Header=BB8_3 Depth=1
	v_or_b32_e32 v47, 0x10000, v48
	v_cmp_eq_u32_sdwa s[0:1], v48, v36 src0_sel:WORD_0 src1_sel:DWORD
	v_cndmask_b32_e64 v47, v47, v48, s[0:1]
; %bb.83:                               ;   in Loop: Header=BB8_3 Depth=1
	s_or_b64 exec, exec, s[24:25]
	v_lshlrev_b32_e32 v48, 16, v49
	v_add_f32_e32 v50, 0xc3080000, v48
	v_and_b32_e32 v48, 0x7f800000, v50
	v_cmp_ne_u32_e64 s[0:1], s6, v48
                                        ; implicit-def: $vgpr48
	s_and_saveexec_b64 s[24:25], s[0:1]
	s_xor_b64 s[0:1], exec, s[24:25]
; %bb.84:                               ;   in Loop: Header=BB8_3 Depth=1
	v_bfe_u32 v48, v50, 16, 1
	v_add3_u32 v48, v50, v48, s27
                                        ; implicit-def: $vgpr50
; %bb.85:                               ;   in Loop: Header=BB8_3 Depth=1
	s_andn2_saveexec_b64 s[24:25], s[0:1]
; %bb.86:                               ;   in Loop: Header=BB8_3 Depth=1
	v_or_b32_e32 v48, 0x10000, v50
	v_cmp_eq_u32_sdwa s[0:1], v50, v36 src0_sel:WORD_0 src1_sel:DWORD
	v_cndmask_b32_e64 v48, v48, v50, s[0:1]
; %bb.87:                               ;   in Loop: Header=BB8_3 Depth=1
	s_or_b64 exec, exec, s[24:25]
	v_and_b32_e32 v49, 0xffff0000, v49
	v_add_f32_e32 v50, 0xc3080000, v49
	v_and_b32_e32 v49, 0x7f800000, v50
	v_cmp_ne_u32_e64 s[0:1], s6, v49
                                        ; implicit-def: $vgpr49
	s_and_saveexec_b64 s[24:25], s[0:1]
	s_xor_b64 s[0:1], exec, s[24:25]
; %bb.88:                               ;   in Loop: Header=BB8_3 Depth=1
	v_bfe_u32 v49, v50, 16, 1
	v_add3_u32 v49, v50, v49, s27
                                        ; implicit-def: $vgpr50
; %bb.89:                               ;   in Loop: Header=BB8_3 Depth=1
	s_andn2_saveexec_b64 s[24:25], s[0:1]
; %bb.90:                               ;   in Loop: Header=BB8_3 Depth=1
	v_or_b32_e32 v49, 0x10000, v50
	v_cmp_eq_u32_sdwa s[0:1], v50, v36 src0_sel:WORD_0 src1_sel:DWORD
	v_cndmask_b32_e64 v49, v49, v50, s[0:1]
; %bb.91:                               ;   in Loop: Header=BB8_3 Depth=1
	s_or_b64 exec, exec, s[24:25]
	v_lshlrev_b32_e32 v50, 16, v51
	v_add_f32_e32 v52, 0xc3080000, v50
	v_and_b32_e32 v50, 0x7f800000, v52
	v_cmp_ne_u32_e64 s[0:1], s6, v50
                                        ; implicit-def: $vgpr50
	s_and_saveexec_b64 s[24:25], s[0:1]
	s_xor_b64 s[0:1], exec, s[24:25]
; %bb.92:                               ;   in Loop: Header=BB8_3 Depth=1
	v_bfe_u32 v50, v52, 16, 1
	v_add3_u32 v50, v52, v50, s27
                                        ; implicit-def: $vgpr52
; %bb.93:                               ;   in Loop: Header=BB8_3 Depth=1
	s_andn2_saveexec_b64 s[24:25], s[0:1]
; %bb.94:                               ;   in Loop: Header=BB8_3 Depth=1
	v_or_b32_e32 v50, 0x10000, v52
	v_cmp_eq_u32_sdwa s[0:1], v52, v36 src0_sel:WORD_0 src1_sel:DWORD
	v_cndmask_b32_e64 v50, v50, v52, s[0:1]
; %bb.95:                               ;   in Loop: Header=BB8_3 Depth=1
	s_or_b64 exec, exec, s[24:25]
	v_and_b32_e32 v51, 0xffff0000, v51
	v_add_f32_e32 v52, 0xc3080000, v51
	v_and_b32_e32 v51, 0x7f800000, v52
	v_cmp_ne_u32_e64 s[0:1], s6, v51
                                        ; implicit-def: $vgpr51
	s_and_saveexec_b64 s[24:25], s[0:1]
	s_xor_b64 s[0:1], exec, s[24:25]
; %bb.96:                               ;   in Loop: Header=BB8_3 Depth=1
	v_bfe_u32 v51, v52, 16, 1
	v_add3_u32 v51, v52, v51, s27
                                        ; implicit-def: $vgpr52
; %bb.97:                               ;   in Loop: Header=BB8_3 Depth=1
	s_andn2_saveexec_b64 s[24:25], s[0:1]
; %bb.98:                               ;   in Loop: Header=BB8_3 Depth=1
	v_or_b32_e32 v51, 0x10000, v52
	v_cmp_eq_u32_sdwa s[0:1], v52, v36 src0_sel:WORD_0 src1_sel:DWORD
	v_cndmask_b32_e64 v51, v51, v52, s[0:1]
; %bb.99:                               ;   in Loop: Header=BB8_3 Depth=1
	s_or_b64 exec, exec, s[24:25]
	v_lshlrev_b32_e32 v52, 16, v53
	v_add_f32_e32 v54, 0xc3080000, v52
	v_and_b32_e32 v52, 0x7f800000, v54
	v_cmp_ne_u32_e64 s[0:1], s6, v52
                                        ; implicit-def: $vgpr52
	s_and_saveexec_b64 s[24:25], s[0:1]
	s_xor_b64 s[0:1], exec, s[24:25]
; %bb.100:                              ;   in Loop: Header=BB8_3 Depth=1
	v_bfe_u32 v52, v54, 16, 1
	v_add3_u32 v52, v54, v52, s27
                                        ; implicit-def: $vgpr54
; %bb.101:                              ;   in Loop: Header=BB8_3 Depth=1
	s_andn2_saveexec_b64 s[24:25], s[0:1]
; %bb.102:                              ;   in Loop: Header=BB8_3 Depth=1
	v_or_b32_e32 v52, 0x10000, v54
	v_cmp_eq_u32_sdwa s[0:1], v54, v36 src0_sel:WORD_0 src1_sel:DWORD
	v_cndmask_b32_e64 v52, v52, v54, s[0:1]
; %bb.103:                              ;   in Loop: Header=BB8_3 Depth=1
	s_or_b64 exec, exec, s[24:25]
	v_and_b32_e32 v53, 0xffff0000, v53
	v_add_f32_e32 v54, 0xc3080000, v53
	v_and_b32_e32 v53, 0x7f800000, v54
	v_cmp_ne_u32_e64 s[0:1], s6, v53
                                        ; implicit-def: $vgpr53
	s_and_saveexec_b64 s[24:25], s[0:1]
	s_xor_b64 s[0:1], exec, s[24:25]
; %bb.104:                              ;   in Loop: Header=BB8_3 Depth=1
	v_bfe_u32 v53, v54, 16, 1
	v_add3_u32 v53, v54, v53, s27
                                        ; implicit-def: $vgpr54
; %bb.105:                              ;   in Loop: Header=BB8_3 Depth=1
	s_andn2_saveexec_b64 s[24:25], s[0:1]
; %bb.106:                              ;   in Loop: Header=BB8_3 Depth=1
	v_or_b32_e32 v53, 0x10000, v54
	v_cmp_eq_u32_sdwa s[0:1], v54, v36 src0_sel:WORD_0 src1_sel:DWORD
	v_cndmask_b32_e64 v53, v53, v54, s[0:1]
; %bb.107:                              ;   in Loop: Header=BB8_3 Depth=1
	s_or_b64 exec, exec, s[24:25]
	v_and_b32_e32 v5, 0xffff0000, v5
	v_fma_f32 v54, v5, v40, v9
	v_and_b32_e32 v5, 0x7f800000, v54
	v_cmp_ne_u32_e64 s[0:1], s6, v5
                                        ; implicit-def: $vgpr5
	s_and_saveexec_b64 s[24:25], s[0:1]
	s_xor_b64 s[0:1], exec, s[24:25]
; %bb.108:                              ;   in Loop: Header=BB8_3 Depth=1
	v_bfe_u32 v5, v54, 16, 1
	v_add3_u32 v5, v54, v5, s27
                                        ; implicit-def: $vgpr54
; %bb.109:                              ;   in Loop: Header=BB8_3 Depth=1
	s_andn2_saveexec_b64 s[24:25], s[0:1]
; %bb.110:                              ;   in Loop: Header=BB8_3 Depth=1
	v_or_b32_e32 v5, 0x10000, v54
	v_cmp_eq_u32_sdwa s[0:1], v54, v36 src0_sel:WORD_0 src1_sel:DWORD
	v_cndmask_b32_e64 v5, v5, v54, s[0:1]
; %bb.111:                              ;   in Loop: Header=BB8_3 Depth=1
	s_or_b64 exec, exec, s[24:25]
	v_and_b32_e32 v47, 0xffff0000, v47
	v_fma_f32 v54, v47, v40, v9
	v_and_b32_e32 v47, 0x7f800000, v54
	v_cmp_ne_u32_e64 s[0:1], s6, v47
                                        ; implicit-def: $vgpr47
	s_and_saveexec_b64 s[24:25], s[0:1]
	s_xor_b64 s[0:1], exec, s[24:25]
; %bb.112:                              ;   in Loop: Header=BB8_3 Depth=1
	v_bfe_u32 v47, v54, 16, 1
	v_add3_u32 v47, v54, v47, s27
                                        ; implicit-def: $vgpr54
; %bb.113:                              ;   in Loop: Header=BB8_3 Depth=1
	s_andn2_saveexec_b64 s[24:25], s[0:1]
; %bb.114:                              ;   in Loop: Header=BB8_3 Depth=1
	v_or_b32_e32 v47, 0x10000, v54
	v_cmp_eq_u32_sdwa s[0:1], v54, v36 src0_sel:WORD_0 src1_sel:DWORD
	v_cndmask_b32_e64 v47, v47, v54, s[0:1]
; %bb.115:                              ;   in Loop: Header=BB8_3 Depth=1
	s_or_b64 exec, exec, s[24:25]
	v_and_b32_e32 v48, 0xffff0000, v48
	v_fma_f32 v54, v48, v40, v9
	v_and_b32_e32 v48, 0x7f800000, v54
	v_cmp_ne_u32_e64 s[0:1], s6, v48
                                        ; implicit-def: $vgpr48
	s_and_saveexec_b64 s[24:25], s[0:1]
	s_xor_b64 s[0:1], exec, s[24:25]
; %bb.116:                              ;   in Loop: Header=BB8_3 Depth=1
	v_bfe_u32 v48, v54, 16, 1
	v_add3_u32 v48, v54, v48, s27
                                        ; implicit-def: $vgpr54
; %bb.117:                              ;   in Loop: Header=BB8_3 Depth=1
	s_andn2_saveexec_b64 s[24:25], s[0:1]
; %bb.118:                              ;   in Loop: Header=BB8_3 Depth=1
	v_or_b32_e32 v48, 0x10000, v54
	v_cmp_eq_u32_sdwa s[0:1], v54, v36 src0_sel:WORD_0 src1_sel:DWORD
	v_cndmask_b32_e64 v48, v48, v54, s[0:1]
; %bb.119:                              ;   in Loop: Header=BB8_3 Depth=1
	s_or_b64 exec, exec, s[24:25]
	v_and_b32_e32 v49, 0xffff0000, v49
	v_fma_f32 v54, v49, v40, v9
	v_and_b32_e32 v49, 0x7f800000, v54
	v_cmp_ne_u32_e64 s[0:1], s6, v49
                                        ; implicit-def: $vgpr49
	s_and_saveexec_b64 s[24:25], s[0:1]
	s_xor_b64 s[0:1], exec, s[24:25]
; %bb.120:                              ;   in Loop: Header=BB8_3 Depth=1
	v_bfe_u32 v49, v54, 16, 1
	v_add3_u32 v49, v54, v49, s27
                                        ; implicit-def: $vgpr54
; %bb.121:                              ;   in Loop: Header=BB8_3 Depth=1
	s_andn2_saveexec_b64 s[24:25], s[0:1]
; %bb.122:                              ;   in Loop: Header=BB8_3 Depth=1
	v_or_b32_e32 v49, 0x10000, v54
	v_cmp_eq_u32_sdwa s[0:1], v54, v36 src0_sel:WORD_0 src1_sel:DWORD
	v_cndmask_b32_e64 v49, v49, v54, s[0:1]
; %bb.123:                              ;   in Loop: Header=BB8_3 Depth=1
	s_or_b64 exec, exec, s[24:25]
	v_and_b32_e32 v50, 0xffff0000, v50
	v_fma_f32 v54, v50, v40, v9
	v_and_b32_e32 v50, 0x7f800000, v54
	v_cmp_ne_u32_e64 s[0:1], s6, v50
                                        ; implicit-def: $vgpr50
	s_and_saveexec_b64 s[24:25], s[0:1]
	s_xor_b64 s[0:1], exec, s[24:25]
; %bb.124:                              ;   in Loop: Header=BB8_3 Depth=1
	v_bfe_u32 v50, v54, 16, 1
	v_add3_u32 v50, v54, v50, s27
                                        ; implicit-def: $vgpr54
; %bb.125:                              ;   in Loop: Header=BB8_3 Depth=1
	s_andn2_saveexec_b64 s[24:25], s[0:1]
; %bb.126:                              ;   in Loop: Header=BB8_3 Depth=1
	v_or_b32_e32 v50, 0x10000, v54
	v_cmp_eq_u32_sdwa s[0:1], v54, v36 src0_sel:WORD_0 src1_sel:DWORD
	v_cndmask_b32_e64 v50, v50, v54, s[0:1]
; %bb.127:                              ;   in Loop: Header=BB8_3 Depth=1
	s_or_b64 exec, exec, s[24:25]
	v_and_b32_e32 v51, 0xffff0000, v51
	v_fma_f32 v54, v51, v40, v9
	v_and_b32_e32 v51, 0x7f800000, v54
	v_cmp_ne_u32_e64 s[0:1], s6, v51
                                        ; implicit-def: $vgpr51
	s_and_saveexec_b64 s[24:25], s[0:1]
	s_xor_b64 s[0:1], exec, s[24:25]
; %bb.128:                              ;   in Loop: Header=BB8_3 Depth=1
	v_bfe_u32 v51, v54, 16, 1
	v_add3_u32 v51, v54, v51, s27
                                        ; implicit-def: $vgpr54
; %bb.129:                              ;   in Loop: Header=BB8_3 Depth=1
	s_andn2_saveexec_b64 s[24:25], s[0:1]
; %bb.130:                              ;   in Loop: Header=BB8_3 Depth=1
	v_or_b32_e32 v51, 0x10000, v54
	v_cmp_eq_u32_sdwa s[0:1], v54, v36 src0_sel:WORD_0 src1_sel:DWORD
	v_cndmask_b32_e64 v51, v51, v54, s[0:1]
; %bb.131:                              ;   in Loop: Header=BB8_3 Depth=1
	s_or_b64 exec, exec, s[24:25]
	v_and_b32_e32 v52, 0xffff0000, v52
	v_fma_f32 v54, v52, v40, v9
	v_and_b32_e32 v52, 0x7f800000, v54
	v_cmp_ne_u32_e64 s[0:1], s6, v52
                                        ; implicit-def: $vgpr52
	s_and_saveexec_b64 s[24:25], s[0:1]
	s_xor_b64 s[0:1], exec, s[24:25]
; %bb.132:                              ;   in Loop: Header=BB8_3 Depth=1
	v_bfe_u32 v52, v54, 16, 1
	v_add3_u32 v52, v54, v52, s27
                                        ; implicit-def: $vgpr54
; %bb.133:                              ;   in Loop: Header=BB8_3 Depth=1
	s_andn2_saveexec_b64 s[24:25], s[0:1]
; %bb.134:                              ;   in Loop: Header=BB8_3 Depth=1
	v_or_b32_e32 v52, 0x10000, v54
	v_cmp_eq_u32_sdwa s[0:1], v54, v36 src0_sel:WORD_0 src1_sel:DWORD
	v_cndmask_b32_e64 v52, v52, v54, s[0:1]
; %bb.135:                              ;   in Loop: Header=BB8_3 Depth=1
	s_or_b64 exec, exec, s[24:25]
	v_and_b32_e32 v53, 0xffff0000, v53
	v_fma_f32 v54, v53, v40, v9
	v_and_b32_e32 v53, 0x7f800000, v54
	v_cmp_ne_u32_e64 s[0:1], s6, v53
                                        ; implicit-def: $vgpr53
	s_and_saveexec_b64 s[24:25], s[0:1]
	s_xor_b64 s[0:1], exec, s[24:25]
; %bb.136:                              ;   in Loop: Header=BB8_3 Depth=1
	v_bfe_u32 v53, v54, 16, 1
	v_add3_u32 v53, v54, v53, s27
                                        ; implicit-def: $vgpr54
; %bb.137:                              ;   in Loop: Header=BB8_3 Depth=1
	s_andn2_saveexec_b64 s[24:25], s[0:1]
; %bb.138:                              ;   in Loop: Header=BB8_3 Depth=1
	v_or_b32_e32 v53, 0x10000, v54
	v_cmp_eq_u32_sdwa s[0:1], v54, v36 src0_sel:WORD_0 src1_sel:DWORD
	v_cndmask_b32_e64 v53, v53, v54, s[0:1]
; %bb.139:                              ;   in Loop: Header=BB8_3 Depth=1
	s_or_b64 exec, exec, s[24:25]
	v_lshrrev_b32_e32 v55, 4, v6
	;;#ASMSTART
	v_and_or_b32 v54, v6, v37, v38
	;;#ASMEND
	;;#ASMSTART
	v_and_or_b32 v56, v55, v37, v38
	;;#ASMEND
	v_lshrrev_b32_e32 v55, 8, v6
	v_lshrrev_b32_e32 v6, 12, v6
	;;#ASMSTART
	v_and_or_b32 v58, v55, v37, v38
	;;#ASMEND
	;;#ASMSTART
	v_and_or_b32 v60, v6, v37, v38
	;;#ASMEND
	v_lshlrev_b32_e32 v6, 16, v54
	v_add_f32_e32 v55, 0xc3080000, v6
	v_and_b32_e32 v6, 0x7f800000, v55
	v_cmp_ne_u32_e64 s[0:1], s6, v6
                                        ; implicit-def: $vgpr6
	s_and_saveexec_b64 s[24:25], s[0:1]
	s_xor_b64 s[0:1], exec, s[24:25]
; %bb.140:                              ;   in Loop: Header=BB8_3 Depth=1
	v_bfe_u32 v6, v55, 16, 1
	v_add3_u32 v6, v55, v6, s27
                                        ; implicit-def: $vgpr55
; %bb.141:                              ;   in Loop: Header=BB8_3 Depth=1
	s_andn2_saveexec_b64 s[24:25], s[0:1]
; %bb.142:                              ;   in Loop: Header=BB8_3 Depth=1
	v_or_b32_e32 v6, 0x10000, v55
	v_cmp_eq_u32_sdwa s[0:1], v55, v36 src0_sel:WORD_0 src1_sel:DWORD
	v_cndmask_b32_e64 v6, v6, v55, s[0:1]
; %bb.143:                              ;   in Loop: Header=BB8_3 Depth=1
	s_or_b64 exec, exec, s[24:25]
	v_and_b32_e32 v54, 0xffff0000, v54
	v_add_f32_e32 v55, 0xc3080000, v54
	v_and_b32_e32 v54, 0x7f800000, v55
	v_cmp_ne_u32_e64 s[0:1], s6, v54
                                        ; implicit-def: $vgpr54
	s_and_saveexec_b64 s[24:25], s[0:1]
	s_xor_b64 s[0:1], exec, s[24:25]
; %bb.144:                              ;   in Loop: Header=BB8_3 Depth=1
	v_bfe_u32 v54, v55, 16, 1
	v_add3_u32 v54, v55, v54, s27
                                        ; implicit-def: $vgpr55
; %bb.145:                              ;   in Loop: Header=BB8_3 Depth=1
	s_andn2_saveexec_b64 s[24:25], s[0:1]
; %bb.146:                              ;   in Loop: Header=BB8_3 Depth=1
	v_or_b32_e32 v54, 0x10000, v55
	v_cmp_eq_u32_sdwa s[0:1], v55, v36 src0_sel:WORD_0 src1_sel:DWORD
	v_cndmask_b32_e64 v54, v54, v55, s[0:1]
; %bb.147:                              ;   in Loop: Header=BB8_3 Depth=1
	s_or_b64 exec, exec, s[24:25]
	v_lshlrev_b32_e32 v55, 16, v56
	v_add_f32_e32 v57, 0xc3080000, v55
	v_and_b32_e32 v55, 0x7f800000, v57
	v_cmp_ne_u32_e64 s[0:1], s6, v55
                                        ; implicit-def: $vgpr55
	s_and_saveexec_b64 s[24:25], s[0:1]
	s_xor_b64 s[0:1], exec, s[24:25]
; %bb.148:                              ;   in Loop: Header=BB8_3 Depth=1
	v_bfe_u32 v55, v57, 16, 1
	v_add3_u32 v55, v57, v55, s27
                                        ; implicit-def: $vgpr57
; %bb.149:                              ;   in Loop: Header=BB8_3 Depth=1
	s_andn2_saveexec_b64 s[24:25], s[0:1]
; %bb.150:                              ;   in Loop: Header=BB8_3 Depth=1
	v_or_b32_e32 v55, 0x10000, v57
	v_cmp_eq_u32_sdwa s[0:1], v57, v36 src0_sel:WORD_0 src1_sel:DWORD
	v_cndmask_b32_e64 v55, v55, v57, s[0:1]
; %bb.151:                              ;   in Loop: Header=BB8_3 Depth=1
	s_or_b64 exec, exec, s[24:25]
	v_and_b32_e32 v56, 0xffff0000, v56
	v_add_f32_e32 v57, 0xc3080000, v56
	v_and_b32_e32 v56, 0x7f800000, v57
	v_cmp_ne_u32_e64 s[0:1], s6, v56
                                        ; implicit-def: $vgpr56
	s_and_saveexec_b64 s[24:25], s[0:1]
	s_xor_b64 s[0:1], exec, s[24:25]
; %bb.152:                              ;   in Loop: Header=BB8_3 Depth=1
	v_bfe_u32 v56, v57, 16, 1
	v_add3_u32 v56, v57, v56, s27
                                        ; implicit-def: $vgpr57
; %bb.153:                              ;   in Loop: Header=BB8_3 Depth=1
	s_andn2_saveexec_b64 s[24:25], s[0:1]
; %bb.154:                              ;   in Loop: Header=BB8_3 Depth=1
	v_or_b32_e32 v56, 0x10000, v57
	v_cmp_eq_u32_sdwa s[0:1], v57, v36 src0_sel:WORD_0 src1_sel:DWORD
	v_cndmask_b32_e64 v56, v56, v57, s[0:1]
; %bb.155:                              ;   in Loop: Header=BB8_3 Depth=1
	s_or_b64 exec, exec, s[24:25]
	v_lshlrev_b32_e32 v57, 16, v58
	v_add_f32_e32 v59, 0xc3080000, v57
	v_and_b32_e32 v57, 0x7f800000, v59
	v_cmp_ne_u32_e64 s[0:1], s6, v57
                                        ; implicit-def: $vgpr57
	s_and_saveexec_b64 s[24:25], s[0:1]
	s_xor_b64 s[0:1], exec, s[24:25]
; %bb.156:                              ;   in Loop: Header=BB8_3 Depth=1
	v_bfe_u32 v57, v59, 16, 1
	v_add3_u32 v57, v59, v57, s27
                                        ; implicit-def: $vgpr59
; %bb.157:                              ;   in Loop: Header=BB8_3 Depth=1
	s_andn2_saveexec_b64 s[24:25], s[0:1]
; %bb.158:                              ;   in Loop: Header=BB8_3 Depth=1
	v_or_b32_e32 v57, 0x10000, v59
	v_cmp_eq_u32_sdwa s[0:1], v59, v36 src0_sel:WORD_0 src1_sel:DWORD
	v_cndmask_b32_e64 v57, v57, v59, s[0:1]
; %bb.159:                              ;   in Loop: Header=BB8_3 Depth=1
	s_or_b64 exec, exec, s[24:25]
	v_and_b32_e32 v58, 0xffff0000, v58
	v_add_f32_e32 v59, 0xc3080000, v58
	v_and_b32_e32 v58, 0x7f800000, v59
	v_cmp_ne_u32_e64 s[0:1], s6, v58
                                        ; implicit-def: $vgpr58
	s_and_saveexec_b64 s[24:25], s[0:1]
	s_xor_b64 s[0:1], exec, s[24:25]
; %bb.160:                              ;   in Loop: Header=BB8_3 Depth=1
	v_bfe_u32 v58, v59, 16, 1
	v_add3_u32 v58, v59, v58, s27
                                        ; implicit-def: $vgpr59
; %bb.161:                              ;   in Loop: Header=BB8_3 Depth=1
	s_andn2_saveexec_b64 s[24:25], s[0:1]
; %bb.162:                              ;   in Loop: Header=BB8_3 Depth=1
	v_or_b32_e32 v58, 0x10000, v59
	v_cmp_eq_u32_sdwa s[0:1], v59, v36 src0_sel:WORD_0 src1_sel:DWORD
	v_cndmask_b32_e64 v58, v58, v59, s[0:1]
; %bb.163:                              ;   in Loop: Header=BB8_3 Depth=1
	s_or_b64 exec, exec, s[24:25]
	v_lshlrev_b32_e32 v59, 16, v60
	v_add_f32_e32 v61, 0xc3080000, v59
	v_and_b32_e32 v59, 0x7f800000, v61
	v_cmp_ne_u32_e64 s[0:1], s6, v59
                                        ; implicit-def: $vgpr59
	s_and_saveexec_b64 s[24:25], s[0:1]
	s_xor_b64 s[0:1], exec, s[24:25]
; %bb.164:                              ;   in Loop: Header=BB8_3 Depth=1
	v_bfe_u32 v59, v61, 16, 1
	v_add3_u32 v59, v61, v59, s27
                                        ; implicit-def: $vgpr61
; %bb.165:                              ;   in Loop: Header=BB8_3 Depth=1
	s_andn2_saveexec_b64 s[24:25], s[0:1]
; %bb.166:                              ;   in Loop: Header=BB8_3 Depth=1
	v_or_b32_e32 v59, 0x10000, v61
	v_cmp_eq_u32_sdwa s[0:1], v61, v36 src0_sel:WORD_0 src1_sel:DWORD
	v_cndmask_b32_e64 v59, v59, v61, s[0:1]
; %bb.167:                              ;   in Loop: Header=BB8_3 Depth=1
	s_or_b64 exec, exec, s[24:25]
	v_and_b32_e32 v60, 0xffff0000, v60
	v_add_f32_e32 v61, 0xc3080000, v60
	v_and_b32_e32 v60, 0x7f800000, v61
	v_cmp_ne_u32_e64 s[0:1], s6, v60
                                        ; implicit-def: $vgpr60
	s_and_saveexec_b64 s[24:25], s[0:1]
	s_xor_b64 s[0:1], exec, s[24:25]
; %bb.168:                              ;   in Loop: Header=BB8_3 Depth=1
	v_bfe_u32 v60, v61, 16, 1
	v_add3_u32 v60, v61, v60, s27
                                        ; implicit-def: $vgpr61
; %bb.169:                              ;   in Loop: Header=BB8_3 Depth=1
	s_andn2_saveexec_b64 s[24:25], s[0:1]
; %bb.170:                              ;   in Loop: Header=BB8_3 Depth=1
	v_or_b32_e32 v60, 0x10000, v61
	v_cmp_eq_u32_sdwa s[0:1], v61, v36 src0_sel:WORD_0 src1_sel:DWORD
	v_cndmask_b32_e64 v60, v60, v61, s[0:1]
; %bb.171:                              ;   in Loop: Header=BB8_3 Depth=1
	s_or_b64 exec, exec, s[24:25]
	v_and_b32_e32 v6, 0xffff0000, v6
	v_fma_f32 v61, v6, v40, v9
	v_and_b32_e32 v6, 0x7f800000, v61
	v_cmp_ne_u32_e64 s[0:1], s6, v6
                                        ; implicit-def: $vgpr6
	s_and_saveexec_b64 s[24:25], s[0:1]
	s_xor_b64 s[0:1], exec, s[24:25]
; %bb.172:                              ;   in Loop: Header=BB8_3 Depth=1
	v_bfe_u32 v6, v61, 16, 1
	v_add3_u32 v6, v61, v6, s27
                                        ; implicit-def: $vgpr61
; %bb.173:                              ;   in Loop: Header=BB8_3 Depth=1
	s_andn2_saveexec_b64 s[24:25], s[0:1]
; %bb.174:                              ;   in Loop: Header=BB8_3 Depth=1
	v_or_b32_e32 v6, 0x10000, v61
	v_cmp_eq_u32_sdwa s[0:1], v61, v36 src0_sel:WORD_0 src1_sel:DWORD
	v_cndmask_b32_e64 v6, v6, v61, s[0:1]
; %bb.175:                              ;   in Loop: Header=BB8_3 Depth=1
	s_or_b64 exec, exec, s[24:25]
	v_and_b32_e32 v54, 0xffff0000, v54
	v_fma_f32 v61, v54, v40, v9
	v_and_b32_e32 v54, 0x7f800000, v61
	v_cmp_ne_u32_e64 s[0:1], s6, v54
                                        ; implicit-def: $vgpr54
	s_and_saveexec_b64 s[24:25], s[0:1]
	s_xor_b64 s[0:1], exec, s[24:25]
; %bb.176:                              ;   in Loop: Header=BB8_3 Depth=1
	v_bfe_u32 v54, v61, 16, 1
	v_add3_u32 v54, v61, v54, s27
                                        ; implicit-def: $vgpr61
; %bb.177:                              ;   in Loop: Header=BB8_3 Depth=1
	s_andn2_saveexec_b64 s[24:25], s[0:1]
; %bb.178:                              ;   in Loop: Header=BB8_3 Depth=1
	v_or_b32_e32 v54, 0x10000, v61
	v_cmp_eq_u32_sdwa s[0:1], v61, v36 src0_sel:WORD_0 src1_sel:DWORD
	v_cndmask_b32_e64 v54, v54, v61, s[0:1]
; %bb.179:                              ;   in Loop: Header=BB8_3 Depth=1
	s_or_b64 exec, exec, s[24:25]
	v_and_b32_e32 v55, 0xffff0000, v55
	v_fma_f32 v61, v55, v40, v9
	v_and_b32_e32 v55, 0x7f800000, v61
	v_cmp_ne_u32_e64 s[0:1], s6, v55
                                        ; implicit-def: $vgpr55
	s_and_saveexec_b64 s[24:25], s[0:1]
	s_xor_b64 s[0:1], exec, s[24:25]
; %bb.180:                              ;   in Loop: Header=BB8_3 Depth=1
	v_bfe_u32 v55, v61, 16, 1
	v_add3_u32 v55, v61, v55, s27
                                        ; implicit-def: $vgpr61
; %bb.181:                              ;   in Loop: Header=BB8_3 Depth=1
	s_andn2_saveexec_b64 s[24:25], s[0:1]
; %bb.182:                              ;   in Loop: Header=BB8_3 Depth=1
	v_or_b32_e32 v55, 0x10000, v61
	v_cmp_eq_u32_sdwa s[0:1], v61, v36 src0_sel:WORD_0 src1_sel:DWORD
	v_cndmask_b32_e64 v55, v55, v61, s[0:1]
; %bb.183:                              ;   in Loop: Header=BB8_3 Depth=1
	s_or_b64 exec, exec, s[24:25]
	v_and_b32_e32 v56, 0xffff0000, v56
	v_fma_f32 v61, v56, v40, v9
	v_and_b32_e32 v56, 0x7f800000, v61
	v_cmp_ne_u32_e64 s[0:1], s6, v56
                                        ; implicit-def: $vgpr56
	s_and_saveexec_b64 s[24:25], s[0:1]
	s_xor_b64 s[0:1], exec, s[24:25]
; %bb.184:                              ;   in Loop: Header=BB8_3 Depth=1
	v_bfe_u32 v56, v61, 16, 1
	v_add3_u32 v56, v61, v56, s27
                                        ; implicit-def: $vgpr61
; %bb.185:                              ;   in Loop: Header=BB8_3 Depth=1
	s_andn2_saveexec_b64 s[24:25], s[0:1]
; %bb.186:                              ;   in Loop: Header=BB8_3 Depth=1
	v_or_b32_e32 v56, 0x10000, v61
	v_cmp_eq_u32_sdwa s[0:1], v61, v36 src0_sel:WORD_0 src1_sel:DWORD
	v_cndmask_b32_e64 v56, v56, v61, s[0:1]
; %bb.187:                              ;   in Loop: Header=BB8_3 Depth=1
	s_or_b64 exec, exec, s[24:25]
	v_and_b32_e32 v57, 0xffff0000, v57
	v_fma_f32 v61, v57, v40, v9
	v_and_b32_e32 v57, 0x7f800000, v61
	v_cmp_ne_u32_e64 s[0:1], s6, v57
                                        ; implicit-def: $vgpr57
	s_and_saveexec_b64 s[24:25], s[0:1]
	s_xor_b64 s[0:1], exec, s[24:25]
; %bb.188:                              ;   in Loop: Header=BB8_3 Depth=1
	v_bfe_u32 v57, v61, 16, 1
	v_add3_u32 v57, v61, v57, s27
                                        ; implicit-def: $vgpr61
; %bb.189:                              ;   in Loop: Header=BB8_3 Depth=1
	s_andn2_saveexec_b64 s[24:25], s[0:1]
; %bb.190:                              ;   in Loop: Header=BB8_3 Depth=1
	v_or_b32_e32 v57, 0x10000, v61
	v_cmp_eq_u32_sdwa s[0:1], v61, v36 src0_sel:WORD_0 src1_sel:DWORD
	v_cndmask_b32_e64 v57, v57, v61, s[0:1]
; %bb.191:                              ;   in Loop: Header=BB8_3 Depth=1
	s_or_b64 exec, exec, s[24:25]
	v_and_b32_e32 v58, 0xffff0000, v58
	v_fma_f32 v61, v58, v40, v9
	v_and_b32_e32 v58, 0x7f800000, v61
	v_cmp_ne_u32_e64 s[0:1], s6, v58
                                        ; implicit-def: $vgpr58
	s_and_saveexec_b64 s[24:25], s[0:1]
	s_xor_b64 s[0:1], exec, s[24:25]
; %bb.192:                              ;   in Loop: Header=BB8_3 Depth=1
	v_bfe_u32 v58, v61, 16, 1
	v_add3_u32 v58, v61, v58, s27
                                        ; implicit-def: $vgpr61
; %bb.193:                              ;   in Loop: Header=BB8_3 Depth=1
	s_andn2_saveexec_b64 s[24:25], s[0:1]
; %bb.194:                              ;   in Loop: Header=BB8_3 Depth=1
	v_or_b32_e32 v58, 0x10000, v61
	v_cmp_eq_u32_sdwa s[0:1], v61, v36 src0_sel:WORD_0 src1_sel:DWORD
	v_cndmask_b32_e64 v58, v58, v61, s[0:1]
; %bb.195:                              ;   in Loop: Header=BB8_3 Depth=1
	s_or_b64 exec, exec, s[24:25]
	v_and_b32_e32 v59, 0xffff0000, v59
	v_fma_f32 v61, v59, v40, v9
	v_and_b32_e32 v59, 0x7f800000, v61
	v_cmp_ne_u32_e64 s[0:1], s6, v59
                                        ; implicit-def: $vgpr59
	s_and_saveexec_b64 s[24:25], s[0:1]
	s_xor_b64 s[0:1], exec, s[24:25]
; %bb.196:                              ;   in Loop: Header=BB8_3 Depth=1
	v_bfe_u32 v59, v61, 16, 1
	v_add3_u32 v59, v61, v59, s27
                                        ; implicit-def: $vgpr61
; %bb.197:                              ;   in Loop: Header=BB8_3 Depth=1
	s_andn2_saveexec_b64 s[24:25], s[0:1]
; %bb.198:                              ;   in Loop: Header=BB8_3 Depth=1
	v_or_b32_e32 v59, 0x10000, v61
	v_cmp_eq_u32_sdwa s[0:1], v61, v36 src0_sel:WORD_0 src1_sel:DWORD
	v_cndmask_b32_e64 v59, v59, v61, s[0:1]
; %bb.199:                              ;   in Loop: Header=BB8_3 Depth=1
	s_or_b64 exec, exec, s[24:25]
	v_and_b32_e32 v60, 0xffff0000, v60
	v_fma_f32 v61, v60, v40, v9
	v_and_b32_e32 v60, 0x7f800000, v61
	v_cmp_ne_u32_e64 s[0:1], s6, v60
                                        ; implicit-def: $vgpr60
	s_and_saveexec_b64 s[24:25], s[0:1]
	s_xor_b64 s[0:1], exec, s[24:25]
; %bb.200:                              ;   in Loop: Header=BB8_3 Depth=1
	v_bfe_u32 v60, v61, 16, 1
	v_add3_u32 v60, v61, v60, s27
                                        ; implicit-def: $vgpr61
; %bb.201:                              ;   in Loop: Header=BB8_3 Depth=1
	s_andn2_saveexec_b64 s[24:25], s[0:1]
; %bb.202:                              ;   in Loop: Header=BB8_3 Depth=1
	v_or_b32_e32 v60, 0x10000, v61
	v_cmp_eq_u32_sdwa s[0:1], v61, v36 src0_sel:WORD_0 src1_sel:DWORD
	v_cndmask_b32_e64 v60, v60, v61, s[0:1]
; %bb.203:                              ;   in Loop: Header=BB8_3 Depth=1
	s_or_b64 exec, exec, s[24:25]
	v_lshrrev_b32_e32 v62, 4, v7
	;;#ASMSTART
	v_and_or_b32 v61, v7, v37, v38
	;;#ASMEND
	;;#ASMSTART
	v_and_or_b32 v63, v62, v37, v38
	;;#ASMEND
	v_lshrrev_b32_e32 v62, 8, v7
	v_lshrrev_b32_e32 v7, 12, v7
	;;#ASMSTART
	v_and_or_b32 v65, v62, v37, v38
	;;#ASMEND
	;;#ASMSTART
	v_and_or_b32 v67, v7, v37, v38
	;;#ASMEND
	v_lshlrev_b32_e32 v7, 16, v61
	v_add_f32_e32 v62, 0xc3080000, v7
	v_and_b32_e32 v7, 0x7f800000, v62
	v_cmp_ne_u32_e64 s[0:1], s6, v7
                                        ; implicit-def: $vgpr7
	s_and_saveexec_b64 s[24:25], s[0:1]
	s_xor_b64 s[0:1], exec, s[24:25]
; %bb.204:                              ;   in Loop: Header=BB8_3 Depth=1
	v_bfe_u32 v7, v62, 16, 1
	v_add3_u32 v7, v62, v7, s27
                                        ; implicit-def: $vgpr62
; %bb.205:                              ;   in Loop: Header=BB8_3 Depth=1
	s_andn2_saveexec_b64 s[24:25], s[0:1]
; %bb.206:                              ;   in Loop: Header=BB8_3 Depth=1
	v_or_b32_e32 v7, 0x10000, v62
	v_cmp_eq_u32_sdwa s[0:1], v62, v36 src0_sel:WORD_0 src1_sel:DWORD
	v_cndmask_b32_e64 v7, v7, v62, s[0:1]
; %bb.207:                              ;   in Loop: Header=BB8_3 Depth=1
	s_or_b64 exec, exec, s[24:25]
	v_and_b32_e32 v61, 0xffff0000, v61
	v_add_f32_e32 v62, 0xc3080000, v61
	v_and_b32_e32 v61, 0x7f800000, v62
	v_cmp_ne_u32_e64 s[0:1], s6, v61
                                        ; implicit-def: $vgpr61
	s_and_saveexec_b64 s[24:25], s[0:1]
	s_xor_b64 s[0:1], exec, s[24:25]
; %bb.208:                              ;   in Loop: Header=BB8_3 Depth=1
	v_bfe_u32 v61, v62, 16, 1
	v_add3_u32 v61, v62, v61, s27
                                        ; implicit-def: $vgpr62
; %bb.209:                              ;   in Loop: Header=BB8_3 Depth=1
	s_andn2_saveexec_b64 s[24:25], s[0:1]
; %bb.210:                              ;   in Loop: Header=BB8_3 Depth=1
	v_or_b32_e32 v61, 0x10000, v62
	v_cmp_eq_u32_sdwa s[0:1], v62, v36 src0_sel:WORD_0 src1_sel:DWORD
	v_cndmask_b32_e64 v61, v61, v62, s[0:1]
; %bb.211:                              ;   in Loop: Header=BB8_3 Depth=1
	s_or_b64 exec, exec, s[24:25]
	v_lshlrev_b32_e32 v62, 16, v63
	v_add_f32_e32 v64, 0xc3080000, v62
	v_and_b32_e32 v62, 0x7f800000, v64
	v_cmp_ne_u32_e64 s[0:1], s6, v62
                                        ; implicit-def: $vgpr62
	s_and_saveexec_b64 s[24:25], s[0:1]
	s_xor_b64 s[0:1], exec, s[24:25]
; %bb.212:                              ;   in Loop: Header=BB8_3 Depth=1
	v_bfe_u32 v62, v64, 16, 1
	v_add3_u32 v62, v64, v62, s27
                                        ; implicit-def: $vgpr64
; %bb.213:                              ;   in Loop: Header=BB8_3 Depth=1
	s_andn2_saveexec_b64 s[24:25], s[0:1]
; %bb.214:                              ;   in Loop: Header=BB8_3 Depth=1
	v_or_b32_e32 v62, 0x10000, v64
	v_cmp_eq_u32_sdwa s[0:1], v64, v36 src0_sel:WORD_0 src1_sel:DWORD
	v_cndmask_b32_e64 v62, v62, v64, s[0:1]
; %bb.215:                              ;   in Loop: Header=BB8_3 Depth=1
	s_or_b64 exec, exec, s[24:25]
	v_and_b32_e32 v63, 0xffff0000, v63
	v_add_f32_e32 v64, 0xc3080000, v63
	v_and_b32_e32 v63, 0x7f800000, v64
	v_cmp_ne_u32_e64 s[0:1], s6, v63
                                        ; implicit-def: $vgpr63
	s_and_saveexec_b64 s[24:25], s[0:1]
	s_xor_b64 s[0:1], exec, s[24:25]
; %bb.216:                              ;   in Loop: Header=BB8_3 Depth=1
	v_bfe_u32 v63, v64, 16, 1
	v_add3_u32 v63, v64, v63, s27
                                        ; implicit-def: $vgpr64
; %bb.217:                              ;   in Loop: Header=BB8_3 Depth=1
	s_andn2_saveexec_b64 s[24:25], s[0:1]
; %bb.218:                              ;   in Loop: Header=BB8_3 Depth=1
	v_or_b32_e32 v63, 0x10000, v64
	v_cmp_eq_u32_sdwa s[0:1], v64, v36 src0_sel:WORD_0 src1_sel:DWORD
	v_cndmask_b32_e64 v63, v63, v64, s[0:1]
; %bb.219:                              ;   in Loop: Header=BB8_3 Depth=1
	s_or_b64 exec, exec, s[24:25]
	v_lshlrev_b32_e32 v64, 16, v65
	v_add_f32_e32 v66, 0xc3080000, v64
	v_and_b32_e32 v64, 0x7f800000, v66
	v_cmp_ne_u32_e64 s[0:1], s6, v64
                                        ; implicit-def: $vgpr64
	s_and_saveexec_b64 s[24:25], s[0:1]
	s_xor_b64 s[0:1], exec, s[24:25]
; %bb.220:                              ;   in Loop: Header=BB8_3 Depth=1
	v_bfe_u32 v64, v66, 16, 1
	v_add3_u32 v64, v66, v64, s27
                                        ; implicit-def: $vgpr66
; %bb.221:                              ;   in Loop: Header=BB8_3 Depth=1
	s_andn2_saveexec_b64 s[24:25], s[0:1]
; %bb.222:                              ;   in Loop: Header=BB8_3 Depth=1
	v_or_b32_e32 v64, 0x10000, v66
	v_cmp_eq_u32_sdwa s[0:1], v66, v36 src0_sel:WORD_0 src1_sel:DWORD
	v_cndmask_b32_e64 v64, v64, v66, s[0:1]
; %bb.223:                              ;   in Loop: Header=BB8_3 Depth=1
	s_or_b64 exec, exec, s[24:25]
	v_and_b32_e32 v65, 0xffff0000, v65
	v_add_f32_e32 v66, 0xc3080000, v65
	v_and_b32_e32 v65, 0x7f800000, v66
	v_cmp_ne_u32_e64 s[0:1], s6, v65
                                        ; implicit-def: $vgpr65
	s_and_saveexec_b64 s[24:25], s[0:1]
	s_xor_b64 s[0:1], exec, s[24:25]
; %bb.224:                              ;   in Loop: Header=BB8_3 Depth=1
	v_bfe_u32 v65, v66, 16, 1
	v_add3_u32 v65, v66, v65, s27
                                        ; implicit-def: $vgpr66
; %bb.225:                              ;   in Loop: Header=BB8_3 Depth=1
	s_andn2_saveexec_b64 s[24:25], s[0:1]
; %bb.226:                              ;   in Loop: Header=BB8_3 Depth=1
	v_or_b32_e32 v65, 0x10000, v66
	v_cmp_eq_u32_sdwa s[0:1], v66, v36 src0_sel:WORD_0 src1_sel:DWORD
	v_cndmask_b32_e64 v65, v65, v66, s[0:1]
; %bb.227:                              ;   in Loop: Header=BB8_3 Depth=1
	s_or_b64 exec, exec, s[24:25]
	v_lshlrev_b32_e32 v66, 16, v67
	v_add_f32_e32 v68, 0xc3080000, v66
	v_and_b32_e32 v66, 0x7f800000, v68
	v_cmp_ne_u32_e64 s[0:1], s6, v66
                                        ; implicit-def: $vgpr66
	s_and_saveexec_b64 s[24:25], s[0:1]
	s_xor_b64 s[0:1], exec, s[24:25]
; %bb.228:                              ;   in Loop: Header=BB8_3 Depth=1
	v_bfe_u32 v66, v68, 16, 1
	v_add3_u32 v66, v68, v66, s27
                                        ; implicit-def: $vgpr68
; %bb.229:                              ;   in Loop: Header=BB8_3 Depth=1
	s_andn2_saveexec_b64 s[24:25], s[0:1]
; %bb.230:                              ;   in Loop: Header=BB8_3 Depth=1
	v_or_b32_e32 v66, 0x10000, v68
	v_cmp_eq_u32_sdwa s[0:1], v68, v36 src0_sel:WORD_0 src1_sel:DWORD
	v_cndmask_b32_e64 v66, v66, v68, s[0:1]
; %bb.231:                              ;   in Loop: Header=BB8_3 Depth=1
	s_or_b64 exec, exec, s[24:25]
	v_and_b32_e32 v67, 0xffff0000, v67
	v_add_f32_e32 v68, 0xc3080000, v67
	v_and_b32_e32 v67, 0x7f800000, v68
	v_cmp_ne_u32_e64 s[0:1], s6, v67
                                        ; implicit-def: $vgpr67
	s_and_saveexec_b64 s[24:25], s[0:1]
	s_xor_b64 s[0:1], exec, s[24:25]
; %bb.232:                              ;   in Loop: Header=BB8_3 Depth=1
	v_bfe_u32 v67, v68, 16, 1
	v_add3_u32 v67, v68, v67, s27
                                        ; implicit-def: $vgpr68
; %bb.233:                              ;   in Loop: Header=BB8_3 Depth=1
	s_andn2_saveexec_b64 s[24:25], s[0:1]
; %bb.234:                              ;   in Loop: Header=BB8_3 Depth=1
	v_or_b32_e32 v67, 0x10000, v68
	v_cmp_eq_u32_sdwa s[0:1], v68, v36 src0_sel:WORD_0 src1_sel:DWORD
	v_cndmask_b32_e64 v67, v67, v68, s[0:1]
; %bb.235:                              ;   in Loop: Header=BB8_3 Depth=1
	s_or_b64 exec, exec, s[24:25]
	v_and_b32_e32 v7, 0xffff0000, v7
	v_fma_f32 v68, v7, v40, v9
	v_and_b32_e32 v7, 0x7f800000, v68
	v_cmp_ne_u32_e64 s[0:1], s6, v7
                                        ; implicit-def: $vgpr7
	s_and_saveexec_b64 s[24:25], s[0:1]
	s_xor_b64 s[0:1], exec, s[24:25]
; %bb.236:                              ;   in Loop: Header=BB8_3 Depth=1
	v_bfe_u32 v7, v68, 16, 1
	v_add3_u32 v7, v68, v7, s27
                                        ; implicit-def: $vgpr68
; %bb.237:                              ;   in Loop: Header=BB8_3 Depth=1
	s_andn2_saveexec_b64 s[24:25], s[0:1]
; %bb.238:                              ;   in Loop: Header=BB8_3 Depth=1
	v_or_b32_e32 v7, 0x10000, v68
	v_cmp_eq_u32_sdwa s[0:1], v68, v36 src0_sel:WORD_0 src1_sel:DWORD
	v_cndmask_b32_e64 v7, v7, v68, s[0:1]
; %bb.239:                              ;   in Loop: Header=BB8_3 Depth=1
	s_or_b64 exec, exec, s[24:25]
	v_and_b32_e32 v61, 0xffff0000, v61
	v_fma_f32 v68, v61, v40, v9
	v_and_b32_e32 v61, 0x7f800000, v68
	v_cmp_ne_u32_e64 s[0:1], s6, v61
                                        ; implicit-def: $vgpr61
	s_and_saveexec_b64 s[24:25], s[0:1]
	s_xor_b64 s[0:1], exec, s[24:25]
; %bb.240:                              ;   in Loop: Header=BB8_3 Depth=1
	v_bfe_u32 v61, v68, 16, 1
	v_add3_u32 v61, v68, v61, s27
                                        ; implicit-def: $vgpr68
; %bb.241:                              ;   in Loop: Header=BB8_3 Depth=1
	s_andn2_saveexec_b64 s[24:25], s[0:1]
; %bb.242:                              ;   in Loop: Header=BB8_3 Depth=1
	v_or_b32_e32 v61, 0x10000, v68
	v_cmp_eq_u32_sdwa s[0:1], v68, v36 src0_sel:WORD_0 src1_sel:DWORD
	v_cndmask_b32_e64 v61, v61, v68, s[0:1]
; %bb.243:                              ;   in Loop: Header=BB8_3 Depth=1
	s_or_b64 exec, exec, s[24:25]
	v_and_b32_e32 v62, 0xffff0000, v62
	v_fma_f32 v68, v62, v40, v9
	v_and_b32_e32 v62, 0x7f800000, v68
	v_cmp_ne_u32_e64 s[0:1], s6, v62
                                        ; implicit-def: $vgpr62
	s_and_saveexec_b64 s[24:25], s[0:1]
	s_xor_b64 s[0:1], exec, s[24:25]
; %bb.244:                              ;   in Loop: Header=BB8_3 Depth=1
	v_bfe_u32 v62, v68, 16, 1
	v_add3_u32 v62, v68, v62, s27
                                        ; implicit-def: $vgpr68
; %bb.245:                              ;   in Loop: Header=BB8_3 Depth=1
	s_andn2_saveexec_b64 s[24:25], s[0:1]
; %bb.246:                              ;   in Loop: Header=BB8_3 Depth=1
	v_or_b32_e32 v62, 0x10000, v68
	v_cmp_eq_u32_sdwa s[0:1], v68, v36 src0_sel:WORD_0 src1_sel:DWORD
	v_cndmask_b32_e64 v62, v62, v68, s[0:1]
; %bb.247:                              ;   in Loop: Header=BB8_3 Depth=1
	s_or_b64 exec, exec, s[24:25]
	v_and_b32_e32 v63, 0xffff0000, v63
	v_fma_f32 v68, v63, v40, v9
	v_and_b32_e32 v63, 0x7f800000, v68
	v_cmp_ne_u32_e64 s[0:1], s6, v63
                                        ; implicit-def: $vgpr63
	s_and_saveexec_b64 s[24:25], s[0:1]
	s_xor_b64 s[0:1], exec, s[24:25]
; %bb.248:                              ;   in Loop: Header=BB8_3 Depth=1
	v_bfe_u32 v63, v68, 16, 1
	v_add3_u32 v63, v68, v63, s27
                                        ; implicit-def: $vgpr68
; %bb.249:                              ;   in Loop: Header=BB8_3 Depth=1
	s_andn2_saveexec_b64 s[24:25], s[0:1]
; %bb.250:                              ;   in Loop: Header=BB8_3 Depth=1
	v_or_b32_e32 v63, 0x10000, v68
	v_cmp_eq_u32_sdwa s[0:1], v68, v36 src0_sel:WORD_0 src1_sel:DWORD
	v_cndmask_b32_e64 v63, v63, v68, s[0:1]
; %bb.251:                              ;   in Loop: Header=BB8_3 Depth=1
	s_or_b64 exec, exec, s[24:25]
	v_and_b32_e32 v64, 0xffff0000, v64
	v_fma_f32 v68, v64, v40, v9
	v_and_b32_e32 v64, 0x7f800000, v68
	v_cmp_ne_u32_e64 s[0:1], s6, v64
                                        ; implicit-def: $vgpr64
	s_and_saveexec_b64 s[24:25], s[0:1]
	s_xor_b64 s[0:1], exec, s[24:25]
; %bb.252:                              ;   in Loop: Header=BB8_3 Depth=1
	v_bfe_u32 v64, v68, 16, 1
	v_add3_u32 v64, v68, v64, s27
                                        ; implicit-def: $vgpr68
; %bb.253:                              ;   in Loop: Header=BB8_3 Depth=1
	s_andn2_saveexec_b64 s[24:25], s[0:1]
; %bb.254:                              ;   in Loop: Header=BB8_3 Depth=1
	v_or_b32_e32 v64, 0x10000, v68
	v_cmp_eq_u32_sdwa s[0:1], v68, v36 src0_sel:WORD_0 src1_sel:DWORD
	v_cndmask_b32_e64 v64, v64, v68, s[0:1]
; %bb.255:                              ;   in Loop: Header=BB8_3 Depth=1
	s_or_b64 exec, exec, s[24:25]
	v_and_b32_e32 v65, 0xffff0000, v65
	v_fma_f32 v68, v65, v40, v9
	v_and_b32_e32 v65, 0x7f800000, v68
	v_cmp_ne_u32_e64 s[0:1], s6, v65
                                        ; implicit-def: $vgpr65
	s_and_saveexec_b64 s[24:25], s[0:1]
	s_xor_b64 s[0:1], exec, s[24:25]
; %bb.256:                              ;   in Loop: Header=BB8_3 Depth=1
	v_bfe_u32 v65, v68, 16, 1
	v_add3_u32 v65, v68, v65, s27
                                        ; implicit-def: $vgpr68
; %bb.257:                              ;   in Loop: Header=BB8_3 Depth=1
	s_andn2_saveexec_b64 s[24:25], s[0:1]
; %bb.258:                              ;   in Loop: Header=BB8_3 Depth=1
	v_or_b32_e32 v65, 0x10000, v68
	v_cmp_eq_u32_sdwa s[0:1], v68, v36 src0_sel:WORD_0 src1_sel:DWORD
	v_cndmask_b32_e64 v65, v65, v68, s[0:1]
; %bb.259:                              ;   in Loop: Header=BB8_3 Depth=1
	s_or_b64 exec, exec, s[24:25]
	v_and_b32_e32 v66, 0xffff0000, v66
	v_fma_f32 v68, v66, v40, v9
	v_and_b32_e32 v66, 0x7f800000, v68
	v_cmp_ne_u32_e64 s[0:1], s6, v66
                                        ; implicit-def: $vgpr66
	s_and_saveexec_b64 s[24:25], s[0:1]
	s_xor_b64 s[0:1], exec, s[24:25]
; %bb.260:                              ;   in Loop: Header=BB8_3 Depth=1
	v_bfe_u32 v66, v68, 16, 1
	v_add3_u32 v66, v68, v66, s27
                                        ; implicit-def: $vgpr68
; %bb.261:                              ;   in Loop: Header=BB8_3 Depth=1
	s_andn2_saveexec_b64 s[24:25], s[0:1]
; %bb.262:                              ;   in Loop: Header=BB8_3 Depth=1
	v_or_b32_e32 v66, 0x10000, v68
	v_cmp_eq_u32_sdwa s[0:1], v68, v36 src0_sel:WORD_0 src1_sel:DWORD
	v_cndmask_b32_e64 v66, v66, v68, s[0:1]
; %bb.263:                              ;   in Loop: Header=BB8_3 Depth=1
	s_or_b64 exec, exec, s[24:25]
	v_and_b32_e32 v67, 0xffff0000, v67
	v_fmac_f32_e32 v9, v67, v40
	v_and_b32_e32 v40, 0x7f800000, v9
	v_cmp_ne_u32_e64 s[0:1], s6, v40
                                        ; implicit-def: $vgpr40
	s_and_saveexec_b64 s[24:25], s[0:1]
	s_xor_b64 s[0:1], exec, s[24:25]
; %bb.264:                              ;   in Loop: Header=BB8_3 Depth=1
	v_bfe_u32 v40, v9, 16, 1
	v_add3_u32 v40, v9, v40, s27
                                        ; implicit-def: $vgpr9
; %bb.265:                              ;   in Loop: Header=BB8_3 Depth=1
	s_andn2_saveexec_b64 s[24:25], s[0:1]
	s_cbranch_execz .LBB8_2
; %bb.266:                              ;   in Loop: Header=BB8_3 Depth=1
	v_or_b32_e32 v40, 0x10000, v9
	v_cmp_eq_u32_sdwa s[0:1], v9, v36 src0_sel:WORD_0 src1_sel:DWORD
	v_cndmask_b32_e64 v40, v40, v9, s[0:1]
	s_branch .LBB8_2
.LBB8_267:
	s_or_b64 exec, exec, s[10:11]
.LBB8_268:
	s_or_b64 exec, exec, s[4:5]
	v_add_u32_e32 v6, s19, v31
	v_cmp_gt_u32_e32 vcc, s3, v6
	s_and_saveexec_b64 s[0:1], vcc
	s_cbranch_execz .LBB8_534
; %bb.269:
	v_lshl_or_b32 v7, s8, 4, v29
	v_mul_lo_u32 v8, v7, s18
	v_ashrrev_i32_e32 v9, 31, v8
	v_and_b32_e32 v4, 0xfc, v27
	v_lshlrev_b64 v[8:9], 1, v[8:9]
	v_lshl_add_u32 v4, v6, 4, v4
	v_mov_b32_e32 v5, s21
	v_add_co_u32_e32 v8, vcc, s20, v8
	v_addc_co_u32_e32 v9, vcc, v5, v9, vcc
	v_ashrrev_i32_e32 v5, 31, v4
	v_lshlrev_b64 v[4:5], 1, v[4:5]
	v_add_co_u32_e32 v4, vcc, v8, v4
	v_addc_co_u32_e32 v5, vcc, v9, v5, vcc
	v_cmp_gt_i32_e32 vcc, s16, v7
	v_mov_b32_e32 v8, 0
	v_mov_b32_e32 v14, 0
	;; [unrolled: 1-line block ×5, first 2 shown]
	s_and_saveexec_b64 s[4:5], vcc
	s_cbranch_execz .LBB8_271
; %bb.270:
	global_load_dwordx2 v[14:15], v[4:5], off
	global_load_dwordx2 v[12:13], v[4:5], off offset:32
.LBB8_271:
	s_or_b64 exec, exec, s[4:5]
	v_mov_b32_e32 v9, 0
	v_mov_b32_e32 v18, 0
	;; [unrolled: 1-line block ×3, first 2 shown]
	s_and_saveexec_b64 s[4:5], vcc
	s_cbranch_execz .LBB8_273
; %bb.272:
	global_load_dwordx2 v[8:9], v[4:5], off offset:64
	global_load_dwordx2 v[18:19], v[4:5], off offset:96
.LBB8_273:
	s_or_b64 exec, exec, s[4:5]
	v_mov_b32_e32 v10, 0
	v_mov_b32_e32 v22, 0
	;; [unrolled: 1-line block ×5, first 2 shown]
	s_and_saveexec_b64 s[4:5], vcc
	s_cbranch_execz .LBB8_275
; %bb.274:
	global_load_dwordx2 v[22:23], v[4:5], off offset:128
	global_load_dwordx2 v[20:21], v[4:5], off offset:160
.LBB8_275:
	s_or_b64 exec, exec, s[4:5]
	v_mov_b32_e32 v11, 0
	v_mov_b32_e32 v16, 0
	;; [unrolled: 1-line block ×3, first 2 shown]
	s_and_saveexec_b64 s[4:5], vcc
	s_cbranch_execz .LBB8_277
; %bb.276:
	global_load_dwordx2 v[10:11], v[4:5], off offset:192
	global_load_dwordx2 v[16:17], v[4:5], off offset:224
.LBB8_277:
	s_or_b64 exec, exec, s[4:5]
	v_ashrrev_i32_e32 v24, 3, v6
	v_add_u32_e32 v4, s9, v24
	v_lshl_add_u32 v4, v4, 8, v30
	v_ashrrev_i32_e32 v5, 31, v4
	v_lshlrev_b64 v[4:5], 2, v[4:5]
	v_mov_b32_e32 v6, s23
	v_add_co_u32_e32 v4, vcc, s22, v4
	v_mul_lo_u32 v24, s2, v24
	v_addc_co_u32_e32 v5, vcc, v6, v5, vcc
	v_lshl_or_b32 v25, s7, 4, v29
	v_lshlrev_b32_e32 v24, 4, v24
	global_load_dwordx4 v[4:7], v[4:5], off
	v_add_lshl_u32 v24, v25, v24, 1
	v_ashrrev_i32_e32 v25, 31, v24
	v_lshlrev_b64 v[24:25], 1, v[24:25]
	v_mov_b32_e32 v29, s13
	v_add_co_u32_e32 v24, vcc, s12, v24
	v_addc_co_u32_e32 v25, vcc, v29, v25, vcc
	global_load_dword v24, v[24:25], off
	v_mov_b32_e32 v29, 0xf000f
	v_mov_b32_e32 v30, 0x43004300
	s_waitcnt vmcnt(1)
	;;#ASMSTART
	v_and_or_b32 v25, v4, v29, v30
	;;#ASMEND
	s_mov_b32 s2, 0x7f800000
	v_lshrrev_b32_e32 v31, 4, v4
	v_lshrrev_b32_e32 v32, 8, v4
	v_lshrrev_b32_e32 v4, 12, v4
	;;#ASMSTART
	v_and_or_b32 v31, v31, v29, v30
	;;#ASMEND
	;;#ASMSTART
	v_and_or_b32 v33, v32, v29, v30
	;;#ASMEND
	;; [unrolled: 3-line block ×3, first 2 shown]
	v_lshlrev_b32_e32 v4, 16, v25
	v_add_f32_e32 v30, 0xc3080000, v4
	v_and_b32_e32 v4, 0x7f800000, v30
	v_cmp_ne_u32_e32 vcc, s2, v4
                                        ; implicit-def: $vgpr4
	s_and_saveexec_b64 s[2:3], vcc
	s_xor_b64 s[2:3], exec, s[2:3]
; %bb.278:
	v_bfe_u32 v4, v30, 16, 1
	s_movk_i32 s4, 0x7fff
	v_add3_u32 v4, v30, v4, s4
                                        ; implicit-def: $vgpr30
; %bb.279:
	s_andn2_saveexec_b64 s[2:3], s[2:3]
; %bb.280:
	v_mov_b32_e32 v4, 0
	v_or_b32_e32 v32, 0x10000, v30
	v_cmp_eq_u32_sdwa vcc, v30, v4 src0_sel:WORD_0 src1_sel:DWORD
	v_cndmask_b32_e32 v4, v32, v30, vcc
; %bb.281:
	s_or_b64 exec, exec, s[2:3]
	v_and_b32_e32 v25, 0xffff0000, v25
	v_add_f32_e32 v30, 0xc3080000, v25
	s_mov_b32 s2, 0x7f800000
	v_and_b32_e32 v25, 0x7f800000, v30
	v_cmp_ne_u32_e32 vcc, s2, v25
                                        ; implicit-def: $vgpr25
	s_and_saveexec_b64 s[2:3], vcc
	s_xor_b64 s[2:3], exec, s[2:3]
; %bb.282:
	v_bfe_u32 v25, v30, 16, 1
	s_movk_i32 s4, 0x7fff
	v_add3_u32 v25, v30, v25, s4
                                        ; implicit-def: $vgpr30
; %bb.283:
	s_andn2_saveexec_b64 s[2:3], s[2:3]
; %bb.284:
	v_mov_b32_e32 v25, 0
	v_or_b32_e32 v32, 0x10000, v30
	v_cmp_eq_u32_sdwa vcc, v30, v25 src0_sel:WORD_0 src1_sel:DWORD
	v_cndmask_b32_e32 v25, v32, v30, vcc
; %bb.285:
	s_or_b64 exec, exec, s[2:3]
	v_lshlrev_b32_e32 v30, 16, v31
	v_add_f32_e32 v32, 0xc3080000, v30
	s_mov_b32 s2, 0x7f800000
	v_and_b32_e32 v30, 0x7f800000, v32
	v_cmp_ne_u32_e32 vcc, s2, v30
                                        ; implicit-def: $vgpr30
	s_and_saveexec_b64 s[2:3], vcc
	s_xor_b64 s[2:3], exec, s[2:3]
; %bb.286:
	v_bfe_u32 v30, v32, 16, 1
	s_movk_i32 s4, 0x7fff
	v_add3_u32 v30, v32, v30, s4
                                        ; implicit-def: $vgpr32
; %bb.287:
	s_andn2_saveexec_b64 s[2:3], s[2:3]
; %bb.288:
	v_mov_b32_e32 v30, 0
	v_or_b32_e32 v34, 0x10000, v32
	v_cmp_eq_u32_sdwa vcc, v32, v30 src0_sel:WORD_0 src1_sel:DWORD
	v_cndmask_b32_e32 v30, v34, v32, vcc
; %bb.289:
	s_or_b64 exec, exec, s[2:3]
	v_and_b32_e32 v31, 0xffff0000, v31
	v_add_f32_e32 v32, 0xc3080000, v31
	s_mov_b32 s2, 0x7f800000
	v_and_b32_e32 v31, 0x7f800000, v32
	v_cmp_ne_u32_e32 vcc, s2, v31
                                        ; implicit-def: $vgpr31
	s_and_saveexec_b64 s[2:3], vcc
	s_xor_b64 s[2:3], exec, s[2:3]
; %bb.290:
	v_bfe_u32 v31, v32, 16, 1
	s_movk_i32 s4, 0x7fff
	v_add3_u32 v31, v32, v31, s4
                                        ; implicit-def: $vgpr32
; %bb.291:
	s_andn2_saveexec_b64 s[2:3], s[2:3]
; %bb.292:
	v_mov_b32_e32 v31, 0
	v_or_b32_e32 v34, 0x10000, v32
	v_cmp_eq_u32_sdwa vcc, v32, v31 src0_sel:WORD_0 src1_sel:DWORD
	v_cndmask_b32_e32 v31, v34, v32, vcc
; %bb.293:
	s_or_b64 exec, exec, s[2:3]
	v_lshlrev_b32_e32 v32, 16, v33
	v_add_f32_e32 v34, 0xc3080000, v32
	s_mov_b32 s2, 0x7f800000
	v_and_b32_e32 v32, 0x7f800000, v34
	v_cmp_ne_u32_e32 vcc, s2, v32
                                        ; implicit-def: $vgpr32
	s_and_saveexec_b64 s[2:3], vcc
	s_xor_b64 s[2:3], exec, s[2:3]
; %bb.294:
	v_bfe_u32 v32, v34, 16, 1
	s_movk_i32 s4, 0x7fff
	v_add3_u32 v32, v34, v32, s4
                                        ; implicit-def: $vgpr34
; %bb.295:
	s_andn2_saveexec_b64 s[2:3], s[2:3]
; %bb.296:
	v_mov_b32_e32 v32, 0
	v_or_b32_e32 v35, 0x10000, v34
	v_cmp_eq_u32_sdwa vcc, v34, v32 src0_sel:WORD_0 src1_sel:DWORD
	v_cndmask_b32_e32 v32, v35, v34, vcc
; %bb.297:
	s_or_b64 exec, exec, s[2:3]
	v_and_b32_e32 v33, 0xffff0000, v33
	v_add_f32_e32 v34, 0xc3080000, v33
	s_mov_b32 s2, 0x7f800000
	v_and_b32_e32 v33, 0x7f800000, v34
	v_cmp_ne_u32_e32 vcc, s2, v33
                                        ; implicit-def: $vgpr33
	s_and_saveexec_b64 s[2:3], vcc
	s_xor_b64 s[2:3], exec, s[2:3]
; %bb.298:
	v_bfe_u32 v33, v34, 16, 1
	s_movk_i32 s4, 0x7fff
	v_add3_u32 v33, v34, v33, s4
                                        ; implicit-def: $vgpr34
; %bb.299:
	s_andn2_saveexec_b64 s[2:3], s[2:3]
; %bb.300:
	v_mov_b32_e32 v33, 0
	v_or_b32_e32 v35, 0x10000, v34
	v_cmp_eq_u32_sdwa vcc, v34, v33 src0_sel:WORD_0 src1_sel:DWORD
	v_cndmask_b32_e32 v33, v35, v34, vcc
; %bb.301:
	s_or_b64 exec, exec, s[2:3]
	v_lshlrev_b32_e32 v34, 16, v29
	v_add_f32_e32 v35, 0xc3080000, v34
	s_mov_b32 s2, 0x7f800000
	v_and_b32_e32 v34, 0x7f800000, v35
	v_cmp_ne_u32_e32 vcc, s2, v34
                                        ; implicit-def: $vgpr34
	s_and_saveexec_b64 s[2:3], vcc
	s_xor_b64 s[2:3], exec, s[2:3]
; %bb.302:
	v_bfe_u32 v34, v35, 16, 1
	s_movk_i32 s4, 0x7fff
	v_add3_u32 v34, v35, v34, s4
                                        ; implicit-def: $vgpr35
; %bb.303:
	s_andn2_saveexec_b64 s[2:3], s[2:3]
; %bb.304:
	v_mov_b32_e32 v34, 0
	v_or_b32_e32 v36, 0x10000, v35
	v_cmp_eq_u32_sdwa vcc, v35, v34 src0_sel:WORD_0 src1_sel:DWORD
	v_cndmask_b32_e32 v34, v36, v35, vcc
; %bb.305:
	s_or_b64 exec, exec, s[2:3]
	v_and_b32_e32 v29, 0xffff0000, v29
	v_add_f32_e32 v29, 0xc3080000, v29
	s_mov_b32 s2, 0x7f800000
	v_and_b32_e32 v35, 0x7f800000, v29
	v_cmp_ne_u32_e32 vcc, s2, v35
                                        ; implicit-def: $vgpr35
	s_and_saveexec_b64 s[2:3], vcc
	s_xor_b64 s[2:3], exec, s[2:3]
; %bb.306:
	v_bfe_u32 v35, v29, 16, 1
	s_movk_i32 s4, 0x7fff
	v_add3_u32 v35, v29, v35, s4
                                        ; implicit-def: $vgpr29
; %bb.307:
	s_andn2_saveexec_b64 s[2:3], s[2:3]
; %bb.308:
	v_mov_b32_e32 v35, 0
	v_or_b32_e32 v36, 0x10000, v29
	v_cmp_eq_u32_sdwa vcc, v29, v35 src0_sel:WORD_0 src1_sel:DWORD
	v_cndmask_b32_e32 v35, v36, v29, vcc
; %bb.309:
	s_or_b64 exec, exec, s[2:3]
	v_and_b32_e32 v4, 0xffff0000, v4
	s_waitcnt vmcnt(0)
	v_lshlrev_b32_e32 v29, 16, v24
	v_and_b32_e32 v24, 0xffff0000, v24
	v_fma_f32 v36, v4, v29, v24
	s_mov_b32 s2, 0x7f800000
	v_and_b32_e32 v4, 0x7f800000, v36
	v_cmp_ne_u32_e32 vcc, s2, v4
                                        ; implicit-def: $vgpr4
	s_and_saveexec_b64 s[2:3], vcc
	s_xor_b64 s[2:3], exec, s[2:3]
; %bb.310:
	v_bfe_u32 v4, v36, 16, 1
	s_movk_i32 s4, 0x7fff
	v_add3_u32 v4, v36, v4, s4
                                        ; implicit-def: $vgpr36
; %bb.311:
	s_andn2_saveexec_b64 s[2:3], s[2:3]
; %bb.312:
	v_mov_b32_e32 v4, 0
	v_or_b32_e32 v37, 0x10000, v36
	v_cmp_eq_u32_sdwa vcc, v36, v4 src0_sel:WORD_0 src1_sel:DWORD
	v_cndmask_b32_e32 v4, v37, v36, vcc
; %bb.313:
	s_or_b64 exec, exec, s[2:3]
	v_and_b32_e32 v25, 0xffff0000, v25
	v_fma_f32 v36, v25, v29, v24
	s_mov_b32 s2, 0x7f800000
	v_and_b32_e32 v25, 0x7f800000, v36
	v_cmp_ne_u32_e32 vcc, s2, v25
                                        ; implicit-def: $vgpr25
	s_and_saveexec_b64 s[2:3], vcc
	s_xor_b64 s[2:3], exec, s[2:3]
; %bb.314:
	v_bfe_u32 v25, v36, 16, 1
	s_movk_i32 s4, 0x7fff
	v_add3_u32 v25, v36, v25, s4
                                        ; implicit-def: $vgpr36
; %bb.315:
	s_andn2_saveexec_b64 s[2:3], s[2:3]
; %bb.316:
	v_mov_b32_e32 v25, 0
	v_or_b32_e32 v37, 0x10000, v36
	v_cmp_eq_u32_sdwa vcc, v36, v25 src0_sel:WORD_0 src1_sel:DWORD
	v_cndmask_b32_e32 v25, v37, v36, vcc
; %bb.317:
	s_or_b64 exec, exec, s[2:3]
	v_and_b32_e32 v30, 0xffff0000, v30
	v_fma_f32 v36, v30, v29, v24
	s_mov_b32 s2, 0x7f800000
	v_and_b32_e32 v30, 0x7f800000, v36
	v_cmp_ne_u32_e32 vcc, s2, v30
                                        ; implicit-def: $vgpr30
	s_and_saveexec_b64 s[2:3], vcc
	s_xor_b64 s[2:3], exec, s[2:3]
; %bb.318:
	v_bfe_u32 v30, v36, 16, 1
	s_movk_i32 s4, 0x7fff
	v_add3_u32 v30, v36, v30, s4
                                        ; implicit-def: $vgpr36
; %bb.319:
	s_andn2_saveexec_b64 s[2:3], s[2:3]
; %bb.320:
	v_mov_b32_e32 v30, 0
	v_or_b32_e32 v37, 0x10000, v36
	v_cmp_eq_u32_sdwa vcc, v36, v30 src0_sel:WORD_0 src1_sel:DWORD
	v_cndmask_b32_e32 v30, v37, v36, vcc
; %bb.321:
	s_or_b64 exec, exec, s[2:3]
	v_and_b32_e32 v31, 0xffff0000, v31
	v_fma_f32 v36, v31, v29, v24
	s_mov_b32 s2, 0x7f800000
	v_and_b32_e32 v31, 0x7f800000, v36
	v_cmp_ne_u32_e32 vcc, s2, v31
                                        ; implicit-def: $vgpr31
	s_and_saveexec_b64 s[2:3], vcc
	s_xor_b64 s[2:3], exec, s[2:3]
; %bb.322:
	v_bfe_u32 v31, v36, 16, 1
	s_movk_i32 s4, 0x7fff
	v_add3_u32 v31, v36, v31, s4
                                        ; implicit-def: $vgpr36
; %bb.323:
	s_andn2_saveexec_b64 s[2:3], s[2:3]
; %bb.324:
	v_mov_b32_e32 v31, 0
	v_or_b32_e32 v37, 0x10000, v36
	v_cmp_eq_u32_sdwa vcc, v36, v31 src0_sel:WORD_0 src1_sel:DWORD
	v_cndmask_b32_e32 v31, v37, v36, vcc
; %bb.325:
	s_or_b64 exec, exec, s[2:3]
	v_and_b32_e32 v32, 0xffff0000, v32
	v_fma_f32 v36, v32, v29, v24
	s_mov_b32 s2, 0x7f800000
	v_and_b32_e32 v32, 0x7f800000, v36
	v_cmp_ne_u32_e32 vcc, s2, v32
                                        ; implicit-def: $vgpr32
	s_and_saveexec_b64 s[2:3], vcc
	s_xor_b64 s[2:3], exec, s[2:3]
; %bb.326:
	v_bfe_u32 v32, v36, 16, 1
	s_movk_i32 s4, 0x7fff
	v_add3_u32 v32, v36, v32, s4
                                        ; implicit-def: $vgpr36
; %bb.327:
	s_andn2_saveexec_b64 s[2:3], s[2:3]
; %bb.328:
	v_mov_b32_e32 v32, 0
	v_or_b32_e32 v37, 0x10000, v36
	v_cmp_eq_u32_sdwa vcc, v36, v32 src0_sel:WORD_0 src1_sel:DWORD
	v_cndmask_b32_e32 v32, v37, v36, vcc
; %bb.329:
	s_or_b64 exec, exec, s[2:3]
	v_and_b32_e32 v33, 0xffff0000, v33
	v_fma_f32 v36, v33, v29, v24
	s_mov_b32 s2, 0x7f800000
	v_and_b32_e32 v33, 0x7f800000, v36
	v_cmp_ne_u32_e32 vcc, s2, v33
                                        ; implicit-def: $vgpr33
	s_and_saveexec_b64 s[2:3], vcc
	s_xor_b64 s[2:3], exec, s[2:3]
; %bb.330:
	v_bfe_u32 v33, v36, 16, 1
	s_movk_i32 s4, 0x7fff
	v_add3_u32 v33, v36, v33, s4
                                        ; implicit-def: $vgpr36
; %bb.331:
	s_andn2_saveexec_b64 s[2:3], s[2:3]
; %bb.332:
	v_mov_b32_e32 v33, 0
	v_or_b32_e32 v37, 0x10000, v36
	v_cmp_eq_u32_sdwa vcc, v36, v33 src0_sel:WORD_0 src1_sel:DWORD
	v_cndmask_b32_e32 v33, v37, v36, vcc
; %bb.333:
	s_or_b64 exec, exec, s[2:3]
	v_and_b32_e32 v34, 0xffff0000, v34
	v_fma_f32 v36, v34, v29, v24
	s_mov_b32 s2, 0x7f800000
	v_and_b32_e32 v34, 0x7f800000, v36
	v_cmp_ne_u32_e32 vcc, s2, v34
                                        ; implicit-def: $vgpr34
	s_and_saveexec_b64 s[2:3], vcc
	s_xor_b64 s[2:3], exec, s[2:3]
; %bb.334:
	v_bfe_u32 v34, v36, 16, 1
	s_movk_i32 s4, 0x7fff
	v_add3_u32 v34, v36, v34, s4
                                        ; implicit-def: $vgpr36
; %bb.335:
	s_andn2_saveexec_b64 s[2:3], s[2:3]
; %bb.336:
	v_mov_b32_e32 v34, 0
	v_or_b32_e32 v37, 0x10000, v36
	v_cmp_eq_u32_sdwa vcc, v36, v34 src0_sel:WORD_0 src1_sel:DWORD
	v_cndmask_b32_e32 v34, v37, v36, vcc
; %bb.337:
	s_or_b64 exec, exec, s[2:3]
	v_and_b32_e32 v35, 0xffff0000, v35
	v_fma_f32 v36, v35, v29, v24
	s_mov_b32 s2, 0x7f800000
	v_and_b32_e32 v35, 0x7f800000, v36
	v_cmp_ne_u32_e32 vcc, s2, v35
                                        ; implicit-def: $vgpr35
	s_and_saveexec_b64 s[2:3], vcc
	s_xor_b64 s[2:3], exec, s[2:3]
; %bb.338:
	v_bfe_u32 v35, v36, 16, 1
	s_movk_i32 s4, 0x7fff
	v_add3_u32 v35, v36, v35, s4
                                        ; implicit-def: $vgpr36
; %bb.339:
	s_andn2_saveexec_b64 s[2:3], s[2:3]
; %bb.340:
	v_mov_b32_e32 v35, 0
	v_or_b32_e32 v37, 0x10000, v36
	v_cmp_eq_u32_sdwa vcc, v36, v35 src0_sel:WORD_0 src1_sel:DWORD
	v_cndmask_b32_e32 v35, v37, v36, vcc
; %bb.341:
	s_or_b64 exec, exec, s[2:3]
	v_mov_b32_e32 v37, 0xf000f
	v_mov_b32_e32 v39, 0x43004300
	;;#ASMSTART
	v_and_or_b32 v36, v5, v37, v39
	;;#ASMEND
	v_lshrrev_b32_e32 v38, 4, v5
	v_lshrrev_b32_e32 v40, 8, v5
	;; [unrolled: 1-line block ×3, first 2 shown]
	;;#ASMSTART
	v_and_or_b32 v38, v38, v37, v39
	;;#ASMEND
	;;#ASMSTART
	v_and_or_b32 v40, v40, v37, v39
	;;#ASMEND
	;;#ASMSTART
	v_and_or_b32 v42, v5, v37, v39
	;;#ASMEND
	v_lshlrev_b32_e32 v5, 16, v36
	v_add_f32_e32 v37, 0xc3080000, v5
	s_mov_b32 s2, 0x7f800000
	v_and_b32_e32 v5, 0x7f800000, v37
	v_cmp_ne_u32_e32 vcc, s2, v5
                                        ; implicit-def: $vgpr5
	s_and_saveexec_b64 s[2:3], vcc
	s_xor_b64 s[2:3], exec, s[2:3]
; %bb.342:
	v_bfe_u32 v5, v37, 16, 1
	s_movk_i32 s4, 0x7fff
	v_add3_u32 v5, v37, v5, s4
                                        ; implicit-def: $vgpr37
; %bb.343:
	s_andn2_saveexec_b64 s[2:3], s[2:3]
; %bb.344:
	v_mov_b32_e32 v5, 0
	v_or_b32_e32 v39, 0x10000, v37
	v_cmp_eq_u32_sdwa vcc, v37, v5 src0_sel:WORD_0 src1_sel:DWORD
	v_cndmask_b32_e32 v5, v39, v37, vcc
; %bb.345:
	s_or_b64 exec, exec, s[2:3]
	v_and_b32_e32 v36, 0xffff0000, v36
	v_add_f32_e32 v37, 0xc3080000, v36
	s_mov_b32 s2, 0x7f800000
	v_and_b32_e32 v36, 0x7f800000, v37
	v_cmp_ne_u32_e32 vcc, s2, v36
                                        ; implicit-def: $vgpr36
	s_and_saveexec_b64 s[2:3], vcc
	s_xor_b64 s[2:3], exec, s[2:3]
; %bb.346:
	v_bfe_u32 v36, v37, 16, 1
	s_movk_i32 s4, 0x7fff
	v_add3_u32 v36, v37, v36, s4
                                        ; implicit-def: $vgpr37
; %bb.347:
	s_andn2_saveexec_b64 s[2:3], s[2:3]
; %bb.348:
	v_mov_b32_e32 v36, 0
	v_or_b32_e32 v39, 0x10000, v37
	v_cmp_eq_u32_sdwa vcc, v37, v36 src0_sel:WORD_0 src1_sel:DWORD
	v_cndmask_b32_e32 v36, v39, v37, vcc
; %bb.349:
	s_or_b64 exec, exec, s[2:3]
	v_lshlrev_b32_e32 v37, 16, v38
	v_add_f32_e32 v39, 0xc3080000, v37
	s_mov_b32 s2, 0x7f800000
	v_and_b32_e32 v37, 0x7f800000, v39
	v_cmp_ne_u32_e32 vcc, s2, v37
                                        ; implicit-def: $vgpr37
	s_and_saveexec_b64 s[2:3], vcc
	s_xor_b64 s[2:3], exec, s[2:3]
; %bb.350:
	v_bfe_u32 v37, v39, 16, 1
	s_movk_i32 s4, 0x7fff
	v_add3_u32 v37, v39, v37, s4
                                        ; implicit-def: $vgpr39
; %bb.351:
	s_andn2_saveexec_b64 s[2:3], s[2:3]
; %bb.352:
	v_mov_b32_e32 v37, 0
	v_or_b32_e32 v41, 0x10000, v39
	v_cmp_eq_u32_sdwa vcc, v39, v37 src0_sel:WORD_0 src1_sel:DWORD
	v_cndmask_b32_e32 v37, v41, v39, vcc
; %bb.353:
	s_or_b64 exec, exec, s[2:3]
	v_and_b32_e32 v38, 0xffff0000, v38
	v_add_f32_e32 v39, 0xc3080000, v38
	s_mov_b32 s2, 0x7f800000
	v_and_b32_e32 v38, 0x7f800000, v39
	v_cmp_ne_u32_e32 vcc, s2, v38
                                        ; implicit-def: $vgpr38
	s_and_saveexec_b64 s[2:3], vcc
	s_xor_b64 s[2:3], exec, s[2:3]
; %bb.354:
	v_bfe_u32 v38, v39, 16, 1
	s_movk_i32 s4, 0x7fff
	v_add3_u32 v38, v39, v38, s4
                                        ; implicit-def: $vgpr39
; %bb.355:
	s_andn2_saveexec_b64 s[2:3], s[2:3]
; %bb.356:
	v_mov_b32_e32 v38, 0
	v_or_b32_e32 v41, 0x10000, v39
	v_cmp_eq_u32_sdwa vcc, v39, v38 src0_sel:WORD_0 src1_sel:DWORD
	v_cndmask_b32_e32 v38, v41, v39, vcc
; %bb.357:
	s_or_b64 exec, exec, s[2:3]
	v_lshlrev_b32_e32 v39, 16, v40
	v_add_f32_e32 v41, 0xc3080000, v39
	s_mov_b32 s2, 0x7f800000
	v_and_b32_e32 v39, 0x7f800000, v41
	v_cmp_ne_u32_e32 vcc, s2, v39
                                        ; implicit-def: $vgpr39
	s_and_saveexec_b64 s[2:3], vcc
	s_xor_b64 s[2:3], exec, s[2:3]
; %bb.358:
	v_bfe_u32 v39, v41, 16, 1
	s_movk_i32 s4, 0x7fff
	v_add3_u32 v39, v41, v39, s4
                                        ; implicit-def: $vgpr41
; %bb.359:
	s_andn2_saveexec_b64 s[2:3], s[2:3]
; %bb.360:
	v_mov_b32_e32 v39, 0
	v_or_b32_e32 v43, 0x10000, v41
	v_cmp_eq_u32_sdwa vcc, v41, v39 src0_sel:WORD_0 src1_sel:DWORD
	v_cndmask_b32_e32 v39, v43, v41, vcc
; %bb.361:
	s_or_b64 exec, exec, s[2:3]
	v_and_b32_e32 v40, 0xffff0000, v40
	v_add_f32_e32 v41, 0xc3080000, v40
	s_mov_b32 s2, 0x7f800000
	v_and_b32_e32 v40, 0x7f800000, v41
	v_cmp_ne_u32_e32 vcc, s2, v40
                                        ; implicit-def: $vgpr40
	s_and_saveexec_b64 s[2:3], vcc
	s_xor_b64 s[2:3], exec, s[2:3]
; %bb.362:
	v_bfe_u32 v40, v41, 16, 1
	s_movk_i32 s4, 0x7fff
	v_add3_u32 v40, v41, v40, s4
                                        ; implicit-def: $vgpr41
; %bb.363:
	s_andn2_saveexec_b64 s[2:3], s[2:3]
; %bb.364:
	v_mov_b32_e32 v40, 0
	v_or_b32_e32 v43, 0x10000, v41
	v_cmp_eq_u32_sdwa vcc, v41, v40 src0_sel:WORD_0 src1_sel:DWORD
	v_cndmask_b32_e32 v40, v43, v41, vcc
; %bb.365:
	s_or_b64 exec, exec, s[2:3]
	v_lshlrev_b32_e32 v41, 16, v42
	v_add_f32_e32 v43, 0xc3080000, v41
	s_mov_b32 s2, 0x7f800000
	v_and_b32_e32 v41, 0x7f800000, v43
	v_cmp_ne_u32_e32 vcc, s2, v41
                                        ; implicit-def: $vgpr41
	s_and_saveexec_b64 s[2:3], vcc
	s_xor_b64 s[2:3], exec, s[2:3]
; %bb.366:
	v_bfe_u32 v41, v43, 16, 1
	s_movk_i32 s4, 0x7fff
	v_add3_u32 v41, v43, v41, s4
                                        ; implicit-def: $vgpr43
; %bb.367:
	s_andn2_saveexec_b64 s[2:3], s[2:3]
; %bb.368:
	v_mov_b32_e32 v41, 0
	v_or_b32_e32 v44, 0x10000, v43
	v_cmp_eq_u32_sdwa vcc, v43, v41 src0_sel:WORD_0 src1_sel:DWORD
	v_cndmask_b32_e32 v41, v44, v43, vcc
; %bb.369:
	s_or_b64 exec, exec, s[2:3]
	v_and_b32_e32 v42, 0xffff0000, v42
	v_add_f32_e32 v43, 0xc3080000, v42
	s_mov_b32 s2, 0x7f800000
	v_and_b32_e32 v42, 0x7f800000, v43
	v_cmp_ne_u32_e32 vcc, s2, v42
                                        ; implicit-def: $vgpr42
	s_and_saveexec_b64 s[2:3], vcc
	s_xor_b64 s[2:3], exec, s[2:3]
; %bb.370:
	v_bfe_u32 v42, v43, 16, 1
	s_movk_i32 s4, 0x7fff
	v_add3_u32 v42, v43, v42, s4
                                        ; implicit-def: $vgpr43
; %bb.371:
	s_andn2_saveexec_b64 s[2:3], s[2:3]
; %bb.372:
	v_mov_b32_e32 v42, 0
	v_or_b32_e32 v44, 0x10000, v43
	v_cmp_eq_u32_sdwa vcc, v43, v42 src0_sel:WORD_0 src1_sel:DWORD
	v_cndmask_b32_e32 v42, v44, v43, vcc
; %bb.373:
	s_or_b64 exec, exec, s[2:3]
	v_and_b32_e32 v5, 0xffff0000, v5
	v_fma_f32 v43, v5, v29, v24
	s_mov_b32 s2, 0x7f800000
	v_and_b32_e32 v5, 0x7f800000, v43
	v_cmp_ne_u32_e32 vcc, s2, v5
                                        ; implicit-def: $vgpr5
	s_and_saveexec_b64 s[2:3], vcc
	s_xor_b64 s[2:3], exec, s[2:3]
; %bb.374:
	v_bfe_u32 v5, v43, 16, 1
	s_movk_i32 s4, 0x7fff
	v_add3_u32 v5, v43, v5, s4
                                        ; implicit-def: $vgpr43
; %bb.375:
	s_andn2_saveexec_b64 s[2:3], s[2:3]
; %bb.376:
	v_mov_b32_e32 v5, 0
	v_or_b32_e32 v44, 0x10000, v43
	v_cmp_eq_u32_sdwa vcc, v43, v5 src0_sel:WORD_0 src1_sel:DWORD
	v_cndmask_b32_e32 v5, v44, v43, vcc
; %bb.377:
	s_or_b64 exec, exec, s[2:3]
	v_and_b32_e32 v36, 0xffff0000, v36
	v_fma_f32 v43, v36, v29, v24
	s_mov_b32 s2, 0x7f800000
	v_and_b32_e32 v36, 0x7f800000, v43
	v_cmp_ne_u32_e32 vcc, s2, v36
                                        ; implicit-def: $vgpr36
	s_and_saveexec_b64 s[2:3], vcc
	s_xor_b64 s[2:3], exec, s[2:3]
; %bb.378:
	v_bfe_u32 v36, v43, 16, 1
	s_movk_i32 s4, 0x7fff
	v_add3_u32 v36, v43, v36, s4
                                        ; implicit-def: $vgpr43
; %bb.379:
	s_andn2_saveexec_b64 s[2:3], s[2:3]
; %bb.380:
	v_mov_b32_e32 v36, 0
	v_or_b32_e32 v44, 0x10000, v43
	v_cmp_eq_u32_sdwa vcc, v43, v36 src0_sel:WORD_0 src1_sel:DWORD
	v_cndmask_b32_e32 v36, v44, v43, vcc
; %bb.381:
	s_or_b64 exec, exec, s[2:3]
	v_and_b32_e32 v37, 0xffff0000, v37
	v_fma_f32 v43, v37, v29, v24
	s_mov_b32 s2, 0x7f800000
	v_and_b32_e32 v37, 0x7f800000, v43
	v_cmp_ne_u32_e32 vcc, s2, v37
                                        ; implicit-def: $vgpr37
	s_and_saveexec_b64 s[2:3], vcc
	s_xor_b64 s[2:3], exec, s[2:3]
; %bb.382:
	v_bfe_u32 v37, v43, 16, 1
	s_movk_i32 s4, 0x7fff
	v_add3_u32 v37, v43, v37, s4
                                        ; implicit-def: $vgpr43
; %bb.383:
	s_andn2_saveexec_b64 s[2:3], s[2:3]
; %bb.384:
	v_mov_b32_e32 v37, 0
	v_or_b32_e32 v44, 0x10000, v43
	v_cmp_eq_u32_sdwa vcc, v43, v37 src0_sel:WORD_0 src1_sel:DWORD
	v_cndmask_b32_e32 v37, v44, v43, vcc
; %bb.385:
	s_or_b64 exec, exec, s[2:3]
	v_and_b32_e32 v38, 0xffff0000, v38
	v_fma_f32 v43, v38, v29, v24
	s_mov_b32 s2, 0x7f800000
	v_and_b32_e32 v38, 0x7f800000, v43
	v_cmp_ne_u32_e32 vcc, s2, v38
                                        ; implicit-def: $vgpr38
	s_and_saveexec_b64 s[2:3], vcc
	s_xor_b64 s[2:3], exec, s[2:3]
; %bb.386:
	v_bfe_u32 v38, v43, 16, 1
	s_movk_i32 s4, 0x7fff
	v_add3_u32 v38, v43, v38, s4
                                        ; implicit-def: $vgpr43
; %bb.387:
	s_andn2_saveexec_b64 s[2:3], s[2:3]
; %bb.388:
	v_mov_b32_e32 v38, 0
	v_or_b32_e32 v44, 0x10000, v43
	v_cmp_eq_u32_sdwa vcc, v43, v38 src0_sel:WORD_0 src1_sel:DWORD
	v_cndmask_b32_e32 v38, v44, v43, vcc
; %bb.389:
	s_or_b64 exec, exec, s[2:3]
	v_and_b32_e32 v39, 0xffff0000, v39
	v_fma_f32 v43, v39, v29, v24
	s_mov_b32 s2, 0x7f800000
	v_and_b32_e32 v39, 0x7f800000, v43
	v_cmp_ne_u32_e32 vcc, s2, v39
                                        ; implicit-def: $vgpr39
	s_and_saveexec_b64 s[2:3], vcc
	s_xor_b64 s[2:3], exec, s[2:3]
; %bb.390:
	v_bfe_u32 v39, v43, 16, 1
	s_movk_i32 s4, 0x7fff
	v_add3_u32 v39, v43, v39, s4
                                        ; implicit-def: $vgpr43
; %bb.391:
	s_andn2_saveexec_b64 s[2:3], s[2:3]
; %bb.392:
	v_mov_b32_e32 v39, 0
	v_or_b32_e32 v44, 0x10000, v43
	v_cmp_eq_u32_sdwa vcc, v43, v39 src0_sel:WORD_0 src1_sel:DWORD
	v_cndmask_b32_e32 v39, v44, v43, vcc
; %bb.393:
	s_or_b64 exec, exec, s[2:3]
	v_and_b32_e32 v40, 0xffff0000, v40
	v_fma_f32 v43, v40, v29, v24
	s_mov_b32 s2, 0x7f800000
	v_and_b32_e32 v40, 0x7f800000, v43
	v_cmp_ne_u32_e32 vcc, s2, v40
                                        ; implicit-def: $vgpr40
	s_and_saveexec_b64 s[2:3], vcc
	s_xor_b64 s[2:3], exec, s[2:3]
; %bb.394:
	v_bfe_u32 v40, v43, 16, 1
	s_movk_i32 s4, 0x7fff
	v_add3_u32 v40, v43, v40, s4
                                        ; implicit-def: $vgpr43
; %bb.395:
	s_andn2_saveexec_b64 s[2:3], s[2:3]
; %bb.396:
	v_mov_b32_e32 v40, 0
	v_or_b32_e32 v44, 0x10000, v43
	v_cmp_eq_u32_sdwa vcc, v43, v40 src0_sel:WORD_0 src1_sel:DWORD
	v_cndmask_b32_e32 v40, v44, v43, vcc
; %bb.397:
	s_or_b64 exec, exec, s[2:3]
	v_and_b32_e32 v41, 0xffff0000, v41
	v_fma_f32 v43, v41, v29, v24
	s_mov_b32 s2, 0x7f800000
	v_and_b32_e32 v41, 0x7f800000, v43
	v_cmp_ne_u32_e32 vcc, s2, v41
                                        ; implicit-def: $vgpr41
	s_and_saveexec_b64 s[2:3], vcc
	s_xor_b64 s[2:3], exec, s[2:3]
; %bb.398:
	v_bfe_u32 v41, v43, 16, 1
	s_movk_i32 s4, 0x7fff
	v_add3_u32 v41, v43, v41, s4
                                        ; implicit-def: $vgpr43
; %bb.399:
	s_andn2_saveexec_b64 s[2:3], s[2:3]
; %bb.400:
	v_mov_b32_e32 v41, 0
	v_or_b32_e32 v44, 0x10000, v43
	v_cmp_eq_u32_sdwa vcc, v43, v41 src0_sel:WORD_0 src1_sel:DWORD
	v_cndmask_b32_e32 v41, v44, v43, vcc
; %bb.401:
	s_or_b64 exec, exec, s[2:3]
	v_and_b32_e32 v42, 0xffff0000, v42
	v_fma_f32 v43, v42, v29, v24
	s_mov_b32 s2, 0x7f800000
	v_and_b32_e32 v42, 0x7f800000, v43
	v_cmp_ne_u32_e32 vcc, s2, v42
                                        ; implicit-def: $vgpr42
	s_and_saveexec_b64 s[2:3], vcc
	s_xor_b64 s[2:3], exec, s[2:3]
; %bb.402:
	v_bfe_u32 v42, v43, 16, 1
	s_movk_i32 s4, 0x7fff
	v_add3_u32 v42, v43, v42, s4
                                        ; implicit-def: $vgpr43
; %bb.403:
	s_andn2_saveexec_b64 s[2:3], s[2:3]
; %bb.404:
	v_mov_b32_e32 v42, 0
	v_or_b32_e32 v44, 0x10000, v43
	v_cmp_eq_u32_sdwa vcc, v43, v42 src0_sel:WORD_0 src1_sel:DWORD
	v_cndmask_b32_e32 v42, v44, v43, vcc
; %bb.405:
	s_or_b64 exec, exec, s[2:3]
	v_mov_b32_e32 v44, 0xf000f
	v_mov_b32_e32 v46, 0x43004300
	;;#ASMSTART
	v_and_or_b32 v43, v6, v44, v46
	;;#ASMEND
	v_lshrrev_b32_e32 v45, 4, v6
	v_lshrrev_b32_e32 v47, 8, v6
	;; [unrolled: 1-line block ×3, first 2 shown]
	;;#ASMSTART
	v_and_or_b32 v45, v45, v44, v46
	;;#ASMEND
	;;#ASMSTART
	v_and_or_b32 v47, v47, v44, v46
	;;#ASMEND
	;; [unrolled: 3-line block ×3, first 2 shown]
	v_lshlrev_b32_e32 v6, 16, v43
	v_add_f32_e32 v44, 0xc3080000, v6
	s_mov_b32 s2, 0x7f800000
	v_and_b32_e32 v6, 0x7f800000, v44
	v_cmp_ne_u32_e32 vcc, s2, v6
                                        ; implicit-def: $vgpr6
	s_and_saveexec_b64 s[2:3], vcc
	s_xor_b64 s[2:3], exec, s[2:3]
; %bb.406:
	v_bfe_u32 v6, v44, 16, 1
	s_movk_i32 s4, 0x7fff
	v_add3_u32 v6, v44, v6, s4
                                        ; implicit-def: $vgpr44
; %bb.407:
	s_andn2_saveexec_b64 s[2:3], s[2:3]
; %bb.408:
	v_mov_b32_e32 v6, 0
	v_or_b32_e32 v46, 0x10000, v44
	v_cmp_eq_u32_sdwa vcc, v44, v6 src0_sel:WORD_0 src1_sel:DWORD
	v_cndmask_b32_e32 v6, v46, v44, vcc
; %bb.409:
	s_or_b64 exec, exec, s[2:3]
	v_and_b32_e32 v43, 0xffff0000, v43
	v_add_f32_e32 v44, 0xc3080000, v43
	s_mov_b32 s2, 0x7f800000
	v_and_b32_e32 v43, 0x7f800000, v44
	v_cmp_ne_u32_e32 vcc, s2, v43
                                        ; implicit-def: $vgpr43
	s_and_saveexec_b64 s[2:3], vcc
	s_xor_b64 s[2:3], exec, s[2:3]
; %bb.410:
	v_bfe_u32 v43, v44, 16, 1
	s_movk_i32 s4, 0x7fff
	v_add3_u32 v43, v44, v43, s4
                                        ; implicit-def: $vgpr44
; %bb.411:
	s_andn2_saveexec_b64 s[2:3], s[2:3]
; %bb.412:
	v_mov_b32_e32 v43, 0
	v_or_b32_e32 v46, 0x10000, v44
	v_cmp_eq_u32_sdwa vcc, v44, v43 src0_sel:WORD_0 src1_sel:DWORD
	v_cndmask_b32_e32 v43, v46, v44, vcc
; %bb.413:
	s_or_b64 exec, exec, s[2:3]
	v_lshlrev_b32_e32 v44, 16, v45
	v_add_f32_e32 v46, 0xc3080000, v44
	s_mov_b32 s2, 0x7f800000
	v_and_b32_e32 v44, 0x7f800000, v46
	v_cmp_ne_u32_e32 vcc, s2, v44
                                        ; implicit-def: $vgpr44
	s_and_saveexec_b64 s[2:3], vcc
	s_xor_b64 s[2:3], exec, s[2:3]
; %bb.414:
	v_bfe_u32 v44, v46, 16, 1
	s_movk_i32 s4, 0x7fff
	v_add3_u32 v44, v46, v44, s4
                                        ; implicit-def: $vgpr46
; %bb.415:
	s_andn2_saveexec_b64 s[2:3], s[2:3]
; %bb.416:
	v_mov_b32_e32 v44, 0
	v_or_b32_e32 v48, 0x10000, v46
	v_cmp_eq_u32_sdwa vcc, v46, v44 src0_sel:WORD_0 src1_sel:DWORD
	v_cndmask_b32_e32 v44, v48, v46, vcc
; %bb.417:
	s_or_b64 exec, exec, s[2:3]
	v_and_b32_e32 v45, 0xffff0000, v45
	v_add_f32_e32 v46, 0xc3080000, v45
	s_mov_b32 s2, 0x7f800000
	v_and_b32_e32 v45, 0x7f800000, v46
	v_cmp_ne_u32_e32 vcc, s2, v45
                                        ; implicit-def: $vgpr45
	s_and_saveexec_b64 s[2:3], vcc
	s_xor_b64 s[2:3], exec, s[2:3]
; %bb.418:
	v_bfe_u32 v45, v46, 16, 1
	s_movk_i32 s4, 0x7fff
	v_add3_u32 v45, v46, v45, s4
                                        ; implicit-def: $vgpr46
; %bb.419:
	s_andn2_saveexec_b64 s[2:3], s[2:3]
; %bb.420:
	v_mov_b32_e32 v45, 0
	v_or_b32_e32 v48, 0x10000, v46
	v_cmp_eq_u32_sdwa vcc, v46, v45 src0_sel:WORD_0 src1_sel:DWORD
	v_cndmask_b32_e32 v45, v48, v46, vcc
; %bb.421:
	s_or_b64 exec, exec, s[2:3]
	v_lshlrev_b32_e32 v46, 16, v47
	v_add_f32_e32 v48, 0xc3080000, v46
	s_mov_b32 s2, 0x7f800000
	v_and_b32_e32 v46, 0x7f800000, v48
	v_cmp_ne_u32_e32 vcc, s2, v46
                                        ; implicit-def: $vgpr46
	s_and_saveexec_b64 s[2:3], vcc
	s_xor_b64 s[2:3], exec, s[2:3]
; %bb.422:
	v_bfe_u32 v46, v48, 16, 1
	s_movk_i32 s4, 0x7fff
	v_add3_u32 v46, v48, v46, s4
                                        ; implicit-def: $vgpr48
; %bb.423:
	s_andn2_saveexec_b64 s[2:3], s[2:3]
; %bb.424:
	v_mov_b32_e32 v46, 0
	v_or_b32_e32 v50, 0x10000, v48
	v_cmp_eq_u32_sdwa vcc, v48, v46 src0_sel:WORD_0 src1_sel:DWORD
	v_cndmask_b32_e32 v46, v50, v48, vcc
; %bb.425:
	s_or_b64 exec, exec, s[2:3]
	v_and_b32_e32 v47, 0xffff0000, v47
	v_add_f32_e32 v48, 0xc3080000, v47
	s_mov_b32 s2, 0x7f800000
	v_and_b32_e32 v47, 0x7f800000, v48
	v_cmp_ne_u32_e32 vcc, s2, v47
                                        ; implicit-def: $vgpr47
	s_and_saveexec_b64 s[2:3], vcc
	s_xor_b64 s[2:3], exec, s[2:3]
; %bb.426:
	v_bfe_u32 v47, v48, 16, 1
	s_movk_i32 s4, 0x7fff
	v_add3_u32 v47, v48, v47, s4
                                        ; implicit-def: $vgpr48
; %bb.427:
	s_andn2_saveexec_b64 s[2:3], s[2:3]
; %bb.428:
	v_mov_b32_e32 v47, 0
	v_or_b32_e32 v50, 0x10000, v48
	v_cmp_eq_u32_sdwa vcc, v48, v47 src0_sel:WORD_0 src1_sel:DWORD
	v_cndmask_b32_e32 v47, v50, v48, vcc
; %bb.429:
	s_or_b64 exec, exec, s[2:3]
	v_lshlrev_b32_e32 v48, 16, v49
	v_add_f32_e32 v50, 0xc3080000, v48
	s_mov_b32 s2, 0x7f800000
	v_and_b32_e32 v48, 0x7f800000, v50
	v_cmp_ne_u32_e32 vcc, s2, v48
                                        ; implicit-def: $vgpr48
	s_and_saveexec_b64 s[2:3], vcc
	s_xor_b64 s[2:3], exec, s[2:3]
; %bb.430:
	v_bfe_u32 v48, v50, 16, 1
	s_movk_i32 s4, 0x7fff
	v_add3_u32 v48, v50, v48, s4
                                        ; implicit-def: $vgpr50
; %bb.431:
	s_andn2_saveexec_b64 s[2:3], s[2:3]
; %bb.432:
	v_mov_b32_e32 v48, 0
	v_or_b32_e32 v51, 0x10000, v50
	v_cmp_eq_u32_sdwa vcc, v50, v48 src0_sel:WORD_0 src1_sel:DWORD
	v_cndmask_b32_e32 v48, v51, v50, vcc
; %bb.433:
	s_or_b64 exec, exec, s[2:3]
	v_and_b32_e32 v49, 0xffff0000, v49
	v_add_f32_e32 v50, 0xc3080000, v49
	s_mov_b32 s2, 0x7f800000
	v_and_b32_e32 v49, 0x7f800000, v50
	v_cmp_ne_u32_e32 vcc, s2, v49
                                        ; implicit-def: $vgpr49
	s_and_saveexec_b64 s[2:3], vcc
	s_xor_b64 s[2:3], exec, s[2:3]
; %bb.434:
	v_bfe_u32 v49, v50, 16, 1
	s_movk_i32 s4, 0x7fff
	v_add3_u32 v49, v50, v49, s4
                                        ; implicit-def: $vgpr50
; %bb.435:
	s_andn2_saveexec_b64 s[2:3], s[2:3]
; %bb.436:
	v_mov_b32_e32 v49, 0
	v_or_b32_e32 v51, 0x10000, v50
	v_cmp_eq_u32_sdwa vcc, v50, v49 src0_sel:WORD_0 src1_sel:DWORD
	v_cndmask_b32_e32 v49, v51, v50, vcc
; %bb.437:
	s_or_b64 exec, exec, s[2:3]
	v_and_b32_e32 v6, 0xffff0000, v6
	v_fma_f32 v50, v6, v29, v24
	s_mov_b32 s2, 0x7f800000
	v_and_b32_e32 v6, 0x7f800000, v50
	v_cmp_ne_u32_e32 vcc, s2, v6
                                        ; implicit-def: $vgpr6
	s_and_saveexec_b64 s[2:3], vcc
	s_xor_b64 s[2:3], exec, s[2:3]
; %bb.438:
	v_bfe_u32 v6, v50, 16, 1
	s_movk_i32 s4, 0x7fff
	v_add3_u32 v6, v50, v6, s4
                                        ; implicit-def: $vgpr50
; %bb.439:
	s_andn2_saveexec_b64 s[2:3], s[2:3]
; %bb.440:
	v_mov_b32_e32 v6, 0
	v_or_b32_e32 v51, 0x10000, v50
	v_cmp_eq_u32_sdwa vcc, v50, v6 src0_sel:WORD_0 src1_sel:DWORD
	v_cndmask_b32_e32 v6, v51, v50, vcc
; %bb.441:
	s_or_b64 exec, exec, s[2:3]
	v_and_b32_e32 v43, 0xffff0000, v43
	v_fma_f32 v50, v43, v29, v24
	s_mov_b32 s2, 0x7f800000
	v_and_b32_e32 v43, 0x7f800000, v50
	v_cmp_ne_u32_e32 vcc, s2, v43
                                        ; implicit-def: $vgpr43
	s_and_saveexec_b64 s[2:3], vcc
	s_xor_b64 s[2:3], exec, s[2:3]
; %bb.442:
	v_bfe_u32 v43, v50, 16, 1
	s_movk_i32 s4, 0x7fff
	v_add3_u32 v43, v50, v43, s4
                                        ; implicit-def: $vgpr50
; %bb.443:
	s_andn2_saveexec_b64 s[2:3], s[2:3]
; %bb.444:
	v_mov_b32_e32 v43, 0
	v_or_b32_e32 v51, 0x10000, v50
	v_cmp_eq_u32_sdwa vcc, v50, v43 src0_sel:WORD_0 src1_sel:DWORD
	v_cndmask_b32_e32 v43, v51, v50, vcc
; %bb.445:
	s_or_b64 exec, exec, s[2:3]
	v_and_b32_e32 v44, 0xffff0000, v44
	v_fma_f32 v50, v44, v29, v24
	s_mov_b32 s2, 0x7f800000
	v_and_b32_e32 v44, 0x7f800000, v50
	v_cmp_ne_u32_e32 vcc, s2, v44
                                        ; implicit-def: $vgpr44
	s_and_saveexec_b64 s[2:3], vcc
	s_xor_b64 s[2:3], exec, s[2:3]
; %bb.446:
	v_bfe_u32 v44, v50, 16, 1
	s_movk_i32 s4, 0x7fff
	v_add3_u32 v44, v50, v44, s4
                                        ; implicit-def: $vgpr50
; %bb.447:
	s_andn2_saveexec_b64 s[2:3], s[2:3]
; %bb.448:
	v_mov_b32_e32 v44, 0
	v_or_b32_e32 v51, 0x10000, v50
	v_cmp_eq_u32_sdwa vcc, v50, v44 src0_sel:WORD_0 src1_sel:DWORD
	v_cndmask_b32_e32 v44, v51, v50, vcc
; %bb.449:
	s_or_b64 exec, exec, s[2:3]
	v_and_b32_e32 v45, 0xffff0000, v45
	v_fma_f32 v50, v45, v29, v24
	s_mov_b32 s2, 0x7f800000
	v_and_b32_e32 v45, 0x7f800000, v50
	v_cmp_ne_u32_e32 vcc, s2, v45
                                        ; implicit-def: $vgpr45
	s_and_saveexec_b64 s[2:3], vcc
	s_xor_b64 s[2:3], exec, s[2:3]
; %bb.450:
	v_bfe_u32 v45, v50, 16, 1
	s_movk_i32 s4, 0x7fff
	v_add3_u32 v45, v50, v45, s4
                                        ; implicit-def: $vgpr50
; %bb.451:
	s_andn2_saveexec_b64 s[2:3], s[2:3]
; %bb.452:
	v_mov_b32_e32 v45, 0
	v_or_b32_e32 v51, 0x10000, v50
	v_cmp_eq_u32_sdwa vcc, v50, v45 src0_sel:WORD_0 src1_sel:DWORD
	v_cndmask_b32_e32 v45, v51, v50, vcc
; %bb.453:
	s_or_b64 exec, exec, s[2:3]
	v_and_b32_e32 v46, 0xffff0000, v46
	v_fma_f32 v50, v46, v29, v24
	s_mov_b32 s2, 0x7f800000
	v_and_b32_e32 v46, 0x7f800000, v50
	v_cmp_ne_u32_e32 vcc, s2, v46
                                        ; implicit-def: $vgpr46
	s_and_saveexec_b64 s[2:3], vcc
	s_xor_b64 s[2:3], exec, s[2:3]
; %bb.454:
	v_bfe_u32 v46, v50, 16, 1
	s_movk_i32 s4, 0x7fff
	v_add3_u32 v46, v50, v46, s4
                                        ; implicit-def: $vgpr50
; %bb.455:
	s_andn2_saveexec_b64 s[2:3], s[2:3]
; %bb.456:
	v_mov_b32_e32 v46, 0
	v_or_b32_e32 v51, 0x10000, v50
	v_cmp_eq_u32_sdwa vcc, v50, v46 src0_sel:WORD_0 src1_sel:DWORD
	v_cndmask_b32_e32 v46, v51, v50, vcc
; %bb.457:
	s_or_b64 exec, exec, s[2:3]
	v_and_b32_e32 v47, 0xffff0000, v47
	v_fma_f32 v50, v47, v29, v24
	s_mov_b32 s2, 0x7f800000
	v_and_b32_e32 v47, 0x7f800000, v50
	v_cmp_ne_u32_e32 vcc, s2, v47
                                        ; implicit-def: $vgpr47
	s_and_saveexec_b64 s[2:3], vcc
	s_xor_b64 s[2:3], exec, s[2:3]
; %bb.458:
	v_bfe_u32 v47, v50, 16, 1
	s_movk_i32 s4, 0x7fff
	v_add3_u32 v47, v50, v47, s4
                                        ; implicit-def: $vgpr50
; %bb.459:
	s_andn2_saveexec_b64 s[2:3], s[2:3]
; %bb.460:
	v_mov_b32_e32 v47, 0
	v_or_b32_e32 v51, 0x10000, v50
	v_cmp_eq_u32_sdwa vcc, v50, v47 src0_sel:WORD_0 src1_sel:DWORD
	v_cndmask_b32_e32 v47, v51, v50, vcc
; %bb.461:
	s_or_b64 exec, exec, s[2:3]
	v_and_b32_e32 v48, 0xffff0000, v48
	v_fma_f32 v50, v48, v29, v24
	s_mov_b32 s2, 0x7f800000
	v_and_b32_e32 v48, 0x7f800000, v50
	v_cmp_ne_u32_e32 vcc, s2, v48
                                        ; implicit-def: $vgpr48
	s_and_saveexec_b64 s[2:3], vcc
	s_xor_b64 s[2:3], exec, s[2:3]
; %bb.462:
	v_bfe_u32 v48, v50, 16, 1
	s_movk_i32 s4, 0x7fff
	v_add3_u32 v48, v50, v48, s4
                                        ; implicit-def: $vgpr50
; %bb.463:
	s_andn2_saveexec_b64 s[2:3], s[2:3]
; %bb.464:
	v_mov_b32_e32 v48, 0
	v_or_b32_e32 v51, 0x10000, v50
	v_cmp_eq_u32_sdwa vcc, v50, v48 src0_sel:WORD_0 src1_sel:DWORD
	v_cndmask_b32_e32 v48, v51, v50, vcc
; %bb.465:
	s_or_b64 exec, exec, s[2:3]
	v_and_b32_e32 v49, 0xffff0000, v49
	v_fma_f32 v50, v49, v29, v24
	s_mov_b32 s2, 0x7f800000
	v_and_b32_e32 v49, 0x7f800000, v50
	v_cmp_ne_u32_e32 vcc, s2, v49
                                        ; implicit-def: $vgpr49
	s_and_saveexec_b64 s[2:3], vcc
	s_xor_b64 s[2:3], exec, s[2:3]
; %bb.466:
	v_bfe_u32 v49, v50, 16, 1
	s_movk_i32 s4, 0x7fff
	v_add3_u32 v49, v50, v49, s4
                                        ; implicit-def: $vgpr50
; %bb.467:
	s_andn2_saveexec_b64 s[2:3], s[2:3]
; %bb.468:
	v_mov_b32_e32 v49, 0
	v_or_b32_e32 v51, 0x10000, v50
	v_cmp_eq_u32_sdwa vcc, v50, v49 src0_sel:WORD_0 src1_sel:DWORD
	v_cndmask_b32_e32 v49, v51, v50, vcc
; %bb.469:
	s_or_b64 exec, exec, s[2:3]
	v_mov_b32_e32 v51, 0xf000f
	v_mov_b32_e32 v53, 0x43004300
	;;#ASMSTART
	v_and_or_b32 v50, v7, v51, v53
	;;#ASMEND
	v_lshrrev_b32_e32 v52, 4, v7
	v_lshrrev_b32_e32 v54, 8, v7
	;; [unrolled: 1-line block ×3, first 2 shown]
	;;#ASMSTART
	v_and_or_b32 v52, v52, v51, v53
	;;#ASMEND
	;;#ASMSTART
	v_and_or_b32 v54, v54, v51, v53
	;;#ASMEND
	;; [unrolled: 3-line block ×3, first 2 shown]
	v_lshlrev_b32_e32 v7, 16, v50
	v_add_f32_e32 v51, 0xc3080000, v7
	s_mov_b32 s2, 0x7f800000
	v_and_b32_e32 v7, 0x7f800000, v51
	v_cmp_ne_u32_e32 vcc, s2, v7
                                        ; implicit-def: $vgpr7
	s_and_saveexec_b64 s[2:3], vcc
	s_xor_b64 s[2:3], exec, s[2:3]
; %bb.470:
	v_bfe_u32 v7, v51, 16, 1
	s_movk_i32 s4, 0x7fff
	v_add3_u32 v7, v51, v7, s4
                                        ; implicit-def: $vgpr51
; %bb.471:
	s_andn2_saveexec_b64 s[2:3], s[2:3]
; %bb.472:
	v_mov_b32_e32 v7, 0
	v_or_b32_e32 v53, 0x10000, v51
	v_cmp_eq_u32_sdwa vcc, v51, v7 src0_sel:WORD_0 src1_sel:DWORD
	v_cndmask_b32_e32 v7, v53, v51, vcc
; %bb.473:
	s_or_b64 exec, exec, s[2:3]
	v_and_b32_e32 v50, 0xffff0000, v50
	v_add_f32_e32 v51, 0xc3080000, v50
	s_mov_b32 s2, 0x7f800000
	v_and_b32_e32 v50, 0x7f800000, v51
	v_cmp_ne_u32_e32 vcc, s2, v50
                                        ; implicit-def: $vgpr50
	s_and_saveexec_b64 s[2:3], vcc
	s_xor_b64 s[2:3], exec, s[2:3]
; %bb.474:
	v_bfe_u32 v50, v51, 16, 1
	s_movk_i32 s4, 0x7fff
	v_add3_u32 v50, v51, v50, s4
                                        ; implicit-def: $vgpr51
; %bb.475:
	s_andn2_saveexec_b64 s[2:3], s[2:3]
; %bb.476:
	v_mov_b32_e32 v50, 0
	v_or_b32_e32 v53, 0x10000, v51
	v_cmp_eq_u32_sdwa vcc, v51, v50 src0_sel:WORD_0 src1_sel:DWORD
	v_cndmask_b32_e32 v50, v53, v51, vcc
; %bb.477:
	s_or_b64 exec, exec, s[2:3]
	v_lshlrev_b32_e32 v51, 16, v52
	v_add_f32_e32 v53, 0xc3080000, v51
	s_mov_b32 s2, 0x7f800000
	v_and_b32_e32 v51, 0x7f800000, v53
	v_cmp_ne_u32_e32 vcc, s2, v51
                                        ; implicit-def: $vgpr51
	s_and_saveexec_b64 s[2:3], vcc
	s_xor_b64 s[2:3], exec, s[2:3]
; %bb.478:
	v_bfe_u32 v51, v53, 16, 1
	s_movk_i32 s4, 0x7fff
	v_add3_u32 v51, v53, v51, s4
                                        ; implicit-def: $vgpr53
; %bb.479:
	s_andn2_saveexec_b64 s[2:3], s[2:3]
; %bb.480:
	v_mov_b32_e32 v51, 0
	v_or_b32_e32 v55, 0x10000, v53
	v_cmp_eq_u32_sdwa vcc, v53, v51 src0_sel:WORD_0 src1_sel:DWORD
	v_cndmask_b32_e32 v51, v55, v53, vcc
; %bb.481:
	s_or_b64 exec, exec, s[2:3]
	v_and_b32_e32 v52, 0xffff0000, v52
	v_add_f32_e32 v53, 0xc3080000, v52
	s_mov_b32 s2, 0x7f800000
	v_and_b32_e32 v52, 0x7f800000, v53
	v_cmp_ne_u32_e32 vcc, s2, v52
                                        ; implicit-def: $vgpr52
	s_and_saveexec_b64 s[2:3], vcc
	s_xor_b64 s[2:3], exec, s[2:3]
; %bb.482:
	v_bfe_u32 v52, v53, 16, 1
	s_movk_i32 s4, 0x7fff
	v_add3_u32 v52, v53, v52, s4
                                        ; implicit-def: $vgpr53
; %bb.483:
	s_andn2_saveexec_b64 s[2:3], s[2:3]
; %bb.484:
	v_mov_b32_e32 v52, 0
	v_or_b32_e32 v55, 0x10000, v53
	v_cmp_eq_u32_sdwa vcc, v53, v52 src0_sel:WORD_0 src1_sel:DWORD
	v_cndmask_b32_e32 v52, v55, v53, vcc
; %bb.485:
	s_or_b64 exec, exec, s[2:3]
	v_lshlrev_b32_e32 v53, 16, v54
	v_add_f32_e32 v55, 0xc3080000, v53
	s_mov_b32 s2, 0x7f800000
	v_and_b32_e32 v53, 0x7f800000, v55
	v_cmp_ne_u32_e32 vcc, s2, v53
                                        ; implicit-def: $vgpr53
	s_and_saveexec_b64 s[2:3], vcc
	s_xor_b64 s[2:3], exec, s[2:3]
; %bb.486:
	v_bfe_u32 v53, v55, 16, 1
	s_movk_i32 s4, 0x7fff
	v_add3_u32 v53, v55, v53, s4
                                        ; implicit-def: $vgpr55
; %bb.487:
	s_andn2_saveexec_b64 s[2:3], s[2:3]
; %bb.488:
	v_mov_b32_e32 v53, 0
	v_or_b32_e32 v57, 0x10000, v55
	v_cmp_eq_u32_sdwa vcc, v55, v53 src0_sel:WORD_0 src1_sel:DWORD
	v_cndmask_b32_e32 v53, v57, v55, vcc
; %bb.489:
	s_or_b64 exec, exec, s[2:3]
	v_and_b32_e32 v54, 0xffff0000, v54
	v_add_f32_e32 v55, 0xc3080000, v54
	s_mov_b32 s2, 0x7f800000
	v_and_b32_e32 v54, 0x7f800000, v55
	v_cmp_ne_u32_e32 vcc, s2, v54
                                        ; implicit-def: $vgpr54
	s_and_saveexec_b64 s[2:3], vcc
	s_xor_b64 s[2:3], exec, s[2:3]
; %bb.490:
	v_bfe_u32 v54, v55, 16, 1
	s_movk_i32 s4, 0x7fff
	v_add3_u32 v54, v55, v54, s4
                                        ; implicit-def: $vgpr55
; %bb.491:
	s_andn2_saveexec_b64 s[2:3], s[2:3]
; %bb.492:
	v_mov_b32_e32 v54, 0
	v_or_b32_e32 v57, 0x10000, v55
	v_cmp_eq_u32_sdwa vcc, v55, v54 src0_sel:WORD_0 src1_sel:DWORD
	v_cndmask_b32_e32 v54, v57, v55, vcc
; %bb.493:
	s_or_b64 exec, exec, s[2:3]
	v_lshlrev_b32_e32 v55, 16, v56
	v_add_f32_e32 v57, 0xc3080000, v55
	s_mov_b32 s2, 0x7f800000
	v_and_b32_e32 v55, 0x7f800000, v57
	v_cmp_ne_u32_e32 vcc, s2, v55
                                        ; implicit-def: $vgpr55
	s_and_saveexec_b64 s[2:3], vcc
	s_xor_b64 s[2:3], exec, s[2:3]
; %bb.494:
	v_bfe_u32 v55, v57, 16, 1
	s_movk_i32 s4, 0x7fff
	v_add3_u32 v55, v57, v55, s4
                                        ; implicit-def: $vgpr57
; %bb.495:
	s_andn2_saveexec_b64 s[2:3], s[2:3]
; %bb.496:
	v_mov_b32_e32 v55, 0
	v_or_b32_e32 v58, 0x10000, v57
	v_cmp_eq_u32_sdwa vcc, v57, v55 src0_sel:WORD_0 src1_sel:DWORD
	v_cndmask_b32_e32 v55, v58, v57, vcc
; %bb.497:
	s_or_b64 exec, exec, s[2:3]
	v_and_b32_e32 v56, 0xffff0000, v56
	v_add_f32_e32 v57, 0xc3080000, v56
	s_mov_b32 s2, 0x7f800000
	v_and_b32_e32 v56, 0x7f800000, v57
	v_cmp_ne_u32_e32 vcc, s2, v56
                                        ; implicit-def: $vgpr56
	s_and_saveexec_b64 s[2:3], vcc
	s_xor_b64 s[2:3], exec, s[2:3]
; %bb.498:
	v_bfe_u32 v56, v57, 16, 1
	s_movk_i32 s4, 0x7fff
	v_add3_u32 v56, v57, v56, s4
                                        ; implicit-def: $vgpr57
; %bb.499:
	s_andn2_saveexec_b64 s[2:3], s[2:3]
; %bb.500:
	v_mov_b32_e32 v56, 0
	v_or_b32_e32 v58, 0x10000, v57
	v_cmp_eq_u32_sdwa vcc, v57, v56 src0_sel:WORD_0 src1_sel:DWORD
	v_cndmask_b32_e32 v56, v58, v57, vcc
; %bb.501:
	s_or_b64 exec, exec, s[2:3]
	v_and_b32_e32 v7, 0xffff0000, v7
	v_fma_f32 v57, v7, v29, v24
	s_mov_b32 s2, 0x7f800000
	v_and_b32_e32 v7, 0x7f800000, v57
	v_cmp_ne_u32_e32 vcc, s2, v7
                                        ; implicit-def: $vgpr7
	s_and_saveexec_b64 s[2:3], vcc
	s_xor_b64 s[2:3], exec, s[2:3]
; %bb.502:
	v_bfe_u32 v7, v57, 16, 1
	s_movk_i32 s4, 0x7fff
	v_add3_u32 v7, v57, v7, s4
                                        ; implicit-def: $vgpr57
; %bb.503:
	s_andn2_saveexec_b64 s[2:3], s[2:3]
; %bb.504:
	v_mov_b32_e32 v7, 0
	v_or_b32_e32 v58, 0x10000, v57
	v_cmp_eq_u32_sdwa vcc, v57, v7 src0_sel:WORD_0 src1_sel:DWORD
	v_cndmask_b32_e32 v7, v58, v57, vcc
; %bb.505:
	s_or_b64 exec, exec, s[2:3]
	v_and_b32_e32 v50, 0xffff0000, v50
	v_fma_f32 v57, v50, v29, v24
	s_mov_b32 s2, 0x7f800000
	v_and_b32_e32 v50, 0x7f800000, v57
	v_cmp_ne_u32_e32 vcc, s2, v50
                                        ; implicit-def: $vgpr50
	s_and_saveexec_b64 s[2:3], vcc
	s_xor_b64 s[2:3], exec, s[2:3]
; %bb.506:
	v_bfe_u32 v50, v57, 16, 1
	s_movk_i32 s4, 0x7fff
	v_add3_u32 v50, v57, v50, s4
                                        ; implicit-def: $vgpr57
; %bb.507:
	s_andn2_saveexec_b64 s[2:3], s[2:3]
; %bb.508:
	v_mov_b32_e32 v50, 0
	v_or_b32_e32 v58, 0x10000, v57
	v_cmp_eq_u32_sdwa vcc, v57, v50 src0_sel:WORD_0 src1_sel:DWORD
	v_cndmask_b32_e32 v50, v58, v57, vcc
; %bb.509:
	s_or_b64 exec, exec, s[2:3]
	v_and_b32_e32 v51, 0xffff0000, v51
	v_fma_f32 v57, v51, v29, v24
	s_mov_b32 s2, 0x7f800000
	v_and_b32_e32 v51, 0x7f800000, v57
	v_cmp_ne_u32_e32 vcc, s2, v51
                                        ; implicit-def: $vgpr51
	s_and_saveexec_b64 s[2:3], vcc
	s_xor_b64 s[2:3], exec, s[2:3]
; %bb.510:
	v_bfe_u32 v51, v57, 16, 1
	s_movk_i32 s4, 0x7fff
	v_add3_u32 v51, v57, v51, s4
                                        ; implicit-def: $vgpr57
; %bb.511:
	s_andn2_saveexec_b64 s[2:3], s[2:3]
; %bb.512:
	v_mov_b32_e32 v51, 0
	v_or_b32_e32 v58, 0x10000, v57
	v_cmp_eq_u32_sdwa vcc, v57, v51 src0_sel:WORD_0 src1_sel:DWORD
	v_cndmask_b32_e32 v51, v58, v57, vcc
; %bb.513:
	s_or_b64 exec, exec, s[2:3]
	v_and_b32_e32 v52, 0xffff0000, v52
	v_fma_f32 v57, v52, v29, v24
	s_mov_b32 s2, 0x7f800000
	v_and_b32_e32 v52, 0x7f800000, v57
	v_cmp_ne_u32_e32 vcc, s2, v52
                                        ; implicit-def: $vgpr52
	s_and_saveexec_b64 s[2:3], vcc
	s_xor_b64 s[2:3], exec, s[2:3]
; %bb.514:
	v_bfe_u32 v52, v57, 16, 1
	s_movk_i32 s4, 0x7fff
	v_add3_u32 v52, v57, v52, s4
                                        ; implicit-def: $vgpr57
; %bb.515:
	s_andn2_saveexec_b64 s[2:3], s[2:3]
; %bb.516:
	v_mov_b32_e32 v52, 0
	v_or_b32_e32 v58, 0x10000, v57
	v_cmp_eq_u32_sdwa vcc, v57, v52 src0_sel:WORD_0 src1_sel:DWORD
	v_cndmask_b32_e32 v52, v58, v57, vcc
; %bb.517:
	s_or_b64 exec, exec, s[2:3]
	v_and_b32_e32 v53, 0xffff0000, v53
	v_fma_f32 v57, v53, v29, v24
	s_mov_b32 s2, 0x7f800000
	v_and_b32_e32 v53, 0x7f800000, v57
	v_cmp_ne_u32_e32 vcc, s2, v53
                                        ; implicit-def: $vgpr53
	s_and_saveexec_b64 s[2:3], vcc
	s_xor_b64 s[2:3], exec, s[2:3]
; %bb.518:
	v_bfe_u32 v53, v57, 16, 1
	s_movk_i32 s4, 0x7fff
	v_add3_u32 v53, v57, v53, s4
                                        ; implicit-def: $vgpr57
; %bb.519:
	s_andn2_saveexec_b64 s[2:3], s[2:3]
; %bb.520:
	v_mov_b32_e32 v53, 0
	v_or_b32_e32 v58, 0x10000, v57
	v_cmp_eq_u32_sdwa vcc, v57, v53 src0_sel:WORD_0 src1_sel:DWORD
	v_cndmask_b32_e32 v53, v58, v57, vcc
; %bb.521:
	s_or_b64 exec, exec, s[2:3]
	v_and_b32_e32 v54, 0xffff0000, v54
	v_fma_f32 v57, v54, v29, v24
	s_mov_b32 s2, 0x7f800000
	v_and_b32_e32 v54, 0x7f800000, v57
	v_cmp_ne_u32_e32 vcc, s2, v54
                                        ; implicit-def: $vgpr54
	s_and_saveexec_b64 s[2:3], vcc
	s_xor_b64 s[2:3], exec, s[2:3]
; %bb.522:
	v_bfe_u32 v54, v57, 16, 1
	s_movk_i32 s4, 0x7fff
	v_add3_u32 v54, v57, v54, s4
                                        ; implicit-def: $vgpr57
; %bb.523:
	s_andn2_saveexec_b64 s[2:3], s[2:3]
; %bb.524:
	v_mov_b32_e32 v54, 0
	v_or_b32_e32 v58, 0x10000, v57
	v_cmp_eq_u32_sdwa vcc, v57, v54 src0_sel:WORD_0 src1_sel:DWORD
	v_cndmask_b32_e32 v54, v58, v57, vcc
; %bb.525:
	s_or_b64 exec, exec, s[2:3]
	v_and_b32_e32 v55, 0xffff0000, v55
	v_fma_f32 v57, v55, v29, v24
	s_mov_b32 s2, 0x7f800000
	v_and_b32_e32 v55, 0x7f800000, v57
	v_cmp_ne_u32_e32 vcc, s2, v55
                                        ; implicit-def: $vgpr55
	s_and_saveexec_b64 s[2:3], vcc
	s_xor_b64 s[2:3], exec, s[2:3]
; %bb.526:
	v_bfe_u32 v55, v57, 16, 1
	s_movk_i32 s4, 0x7fff
	v_add3_u32 v55, v57, v55, s4
                                        ; implicit-def: $vgpr57
; %bb.527:
	s_andn2_saveexec_b64 s[2:3], s[2:3]
; %bb.528:
	v_mov_b32_e32 v55, 0
	v_or_b32_e32 v58, 0x10000, v57
	v_cmp_eq_u32_sdwa vcc, v57, v55 src0_sel:WORD_0 src1_sel:DWORD
	v_cndmask_b32_e32 v55, v58, v57, vcc
; %bb.529:
	s_or_b64 exec, exec, s[2:3]
	v_and_b32_e32 v56, 0xffff0000, v56
	v_fmac_f32_e32 v24, v56, v29
	s_mov_b32 s2, 0x7f800000
	v_and_b32_e32 v29, 0x7f800000, v24
	v_cmp_ne_u32_e32 vcc, s2, v29
                                        ; implicit-def: $vgpr29
	s_and_saveexec_b64 s[2:3], vcc
	s_xor_b64 s[2:3], exec, s[2:3]
; %bb.530:
	v_bfe_u32 v29, v24, 16, 1
	s_movk_i32 s4, 0x7fff
	v_add3_u32 v29, v24, v29, s4
                                        ; implicit-def: $vgpr24
; %bb.531:
	s_andn2_saveexec_b64 s[2:3], s[2:3]
; %bb.532:
	v_mov_b32_e32 v29, 0
	v_or_b32_e32 v56, 0x10000, v24
	v_cmp_eq_u32_sdwa vcc, v24, v29 src0_sel:WORD_0 src1_sel:DWORD
	v_cndmask_b32_e32 v29, v56, v24, vcc
; %bb.533:
	s_or_b64 exec, exec, s[2:3]
	s_mov_b32 s2, 0x3020706
	v_perm_b32 v31, v30, v31, s2
	v_perm_b32 v30, v4, v25, s2
	;; [unrolled: 1-line block ×4, first 2 shown]
	v_mfma_f32_16x16x16bf16_1k v[56:59], v[14:15], v[30:31], 0
	v_perm_b32 v15, v34, v35, s2
	v_perm_b32 v14, v32, v33, s2
	v_perm_b32 v5, v41, v42, s2
	v_perm_b32 v4, v39, v40, s2
	v_mfma_f32_16x16x16bf16_1k v[12:15], v[12:13], v[14:15], 0
	s_nop 5
	v_pk_add_f32 v[2:3], v[2:3], v[58:59]
	v_pk_add_f32 v[0:1], v[0:1], v[56:57]
	v_mfma_f32_16x16x16bf16_1k v[30:33], v[8:9], v[24:25], 0
	s_nop 1
	v_pk_add_f32 v[2:3], v[2:3], v[14:15]
	v_perm_b32 v9, v51, v52, s2
	v_perm_b32 v8, v7, v50, s2
	v_pk_add_f32 v[0:1], v[0:1], v[12:13]
	v_mfma_f32_16x16x16bf16_1k v[34:37], v[18:19], v[4:5], 0
	v_perm_b32 v5, v44, v45, s2
	v_perm_b32 v4, v6, v43, s2
	s_nop 1
	v_pk_add_f32 v[2:3], v[2:3], v[32:33]
	v_pk_add_f32 v[12:13], v[0:1], v[30:31]
	v_perm_b32 v19, v55, v29, s2
	v_perm_b32 v18, v53, v54, s2
	s_nop 2
	v_pk_add_f32 v[14:15], v[2:3], v[36:37]
	v_mfma_f32_16x16x16bf16_1k v[22:25], v[22:23], v[4:5], 0
	v_perm_b32 v5, v48, v49, s2
	v_perm_b32 v4, v46, v47, s2
	s_nop 1
	v_mfma_f32_16x16x16bf16_1k v[4:7], v[20:21], v[4:5], 0
	v_mfma_f32_16x16x16bf16_1k v[0:3], v[10:11], v[8:9], 0
	v_pk_add_f32 v[8:9], v[12:13], v[34:35]
	s_nop 3
	v_pk_add_f32 v[10:11], v[14:15], v[24:25]
	v_pk_add_f32 v[8:9], v[8:9], v[22:23]
	s_nop 2
	v_pk_add_f32 v[6:7], v[10:11], v[6:7]
	v_pk_add_f32 v[4:5], v[8:9], v[4:5]
	;; [unrolled: 1-line block ×4, first 2 shown]
	v_mfma_f32_16x16x16bf16_1k v[0:3], v[16:17], v[18:19], 0
	s_nop 7
	s_nop 2
	v_pk_add_f32 v[2:3], v[6:7], v[2:3]
	v_pk_add_f32 v[0:1], v[4:5], v[0:1]
.LBB8_534:
	s_or_b64 exec, exec, s[0:1]
	v_lshlrev_b32_e32 v29, 4, v26
	v_lshl_add_u32 v4, v28, 10, v29
	v_cmp_eq_u32_e32 vcc, 0, v28
	ds_write_b128 v4, v[0:3]
	s_waitcnt lgkmcnt(0)
	s_barrier
	s_and_saveexec_b64 s[0:1], vcc
	s_cbranch_execz .LBB8_559
; %bb.535:
	v_add_u32_e32 v0, 12, v29
	v_add_u32_e32 v1, 0x404, v29
	;; [unrolled: 1-line block ×4, first 2 shown]
	ds_read2st64_b32 v[2:3], v0 offset1:4
	ds_read2st64_b32 v[4:5], v0 offset0:8 offset1:12
	ds_read2_b32 v[10:11], v29 offset0:1 offset1:2
	ds_read2_b32 v[12:13], v1 offset1:1
	ds_read2_b32 v[14:15], v6 offset1:1
	;; [unrolled: 1-line block ×3, first 2 shown]
	v_add_u32_e32 v1, 0x1004, v29
	ds_read2st64_b32 v[6:7], v0 offset0:16 offset1:20
	v_add_u32_e32 v20, 0x1404, v29
	v_add_u32_e32 v22, 0x1804, v29
	ds_read2st64_b32 v[8:9], v0 offset0:24 offset1:28
	v_add_u32_e32 v0, 0x1c04, v29
	ds_read2_b32 v[18:19], v1 offset1:1
	ds_read2_b32 v[20:21], v20 offset1:1
	;; [unrolled: 1-line block ×4, first 2 shown]
	v_and_b32_e32 v0, 0xfc, v27
	v_lshl_add_u32 v27, s8, 4, v0
	v_mul_lo_u32 v30, v27, s17
	v_ashrrev_i32_e32 v31, 31, v30
	s_lshl_b32 s0, s7, 4
	v_lshlrev_b64 v[30:31], 1, v[30:31]
	v_and_or_b32 v0, v26, 15, s0
	v_mov_b32_e32 v1, s15
	v_add_co_u32_e32 v26, vcc, s14, v30
	v_addc_co_u32_e32 v28, vcc, v1, v31, vcc
	v_ashrrev_i32_e32 v1, 31, v0
	v_lshlrev_b64 v[0:1], 1, v[0:1]
	v_add_co_u32_e32 v0, vcc, v26, v0
	v_addc_co_u32_e32 v1, vcc, v28, v1, vcc
	v_cmp_gt_i32_e32 vcc, s16, v27
	s_and_saveexec_b64 s[0:1], vcc
	s_cbranch_execz .LBB8_541
; %bb.536:
	ds_read2st64_b32 v[30:31], v29 offset1:4
	ds_read2st64_b32 v[32:33], v29 offset0:8 offset1:12
	ds_read2st64_b32 v[34:35], v29 offset0:16 offset1:20
	;; [unrolled: 1-line block ×3, first 2 shown]
	s_mov_b32 s2, 0x7f800000
	s_waitcnt lgkmcnt(3)
	v_add_f32_e32 v26, 0, v30
	v_add_f32_e32 v26, v26, v31
	s_waitcnt lgkmcnt(2)
	v_add_f32_e32 v26, v26, v32
	v_add_f32_e32 v26, v26, v33
	;; [unrolled: 3-line block ×4, first 2 shown]
	v_and_b32_e32 v28, 0x7f800000, v26
	v_cmp_ne_u32_e32 vcc, s2, v28
                                        ; implicit-def: $vgpr28
	s_and_saveexec_b64 s[2:3], vcc
	s_xor_b64 s[2:3], exec, s[2:3]
; %bb.537:
	v_bfe_u32 v28, v26, 16, 1
	s_movk_i32 s4, 0x7fff
	v_add3_u32 v28, v26, v28, s4
                                        ; implicit-def: $vgpr26
; %bb.538:
	s_andn2_saveexec_b64 s[2:3], s[2:3]
; %bb.539:
	v_mov_b32_e32 v28, 0
	v_or_b32_e32 v29, 0x10000, v26
	v_cmp_eq_u32_sdwa vcc, v26, v28 src0_sel:WORD_0 src1_sel:DWORD
	v_cndmask_b32_e32 v28, v29, v26, vcc
; %bb.540:
	s_or_b64 exec, exec, s[2:3]
	global_store_short_d16_hi v[0:1], v28, off
.LBB8_541:
	s_or_b64 exec, exec, s[0:1]
	v_or_b32_e32 v26, 1, v27
	v_cmp_gt_i32_e32 vcc, s16, v26
	s_and_saveexec_b64 s[0:1], vcc
	s_cbranch_execz .LBB8_547
; %bb.542:
	s_waitcnt lgkmcnt(9)
	v_add_f32_e32 v10, 0, v10
	s_waitcnt lgkmcnt(8)
	v_add_f32_e32 v10, v10, v12
	;; [unrolled: 2-line block ×8, first 2 shown]
	s_mov_b32 s2, 0x7f800000
	v_and_b32_e32 v10, 0x7f800000, v12
	v_cmp_ne_u32_e32 vcc, s2, v10
                                        ; implicit-def: $vgpr10
	s_and_saveexec_b64 s[2:3], vcc
	s_xor_b64 s[2:3], exec, s[2:3]
; %bb.543:
	v_bfe_u32 v10, v12, 16, 1
	s_movk_i32 s4, 0x7fff
	v_add3_u32 v10, v12, v10, s4
                                        ; implicit-def: $vgpr12
; %bb.544:
	s_andn2_saveexec_b64 s[2:3], s[2:3]
; %bb.545:
	v_mov_b32_e32 v10, 0
	v_or_b32_e32 v14, 0x10000, v12
	v_cmp_eq_u32_sdwa vcc, v12, v10 src0_sel:WORD_0 src1_sel:DWORD
	v_cndmask_b32_e32 v10, v14, v12, vcc
; %bb.546:
	s_or_b64 exec, exec, s[2:3]
	s_ashr_i32 s3, s17, 31
	s_mov_b32 s2, s17
	s_lshl_b64 s[2:3], s[2:3], 1
	v_mov_b32_e32 v12, s3
	v_add_co_u32_e32 v28, vcc, s2, v0
	v_addc_co_u32_e32 v29, vcc, v1, v12, vcc
	global_store_short_d16_hi v[28:29], v10, off
.LBB8_547:
	s_or_b64 exec, exec, s[0:1]
	s_waitcnt lgkmcnt(9)
	v_or_b32_e32 v10, 2, v27
	v_cmp_gt_i32_e32 vcc, s16, v10
	s_and_saveexec_b64 s[0:1], vcc
	s_cbranch_execz .LBB8_553
; %bb.548:
	v_add_f32_e32 v10, 0, v11
	s_waitcnt lgkmcnt(8)
	v_add_f32_e32 v10, v10, v13
	s_waitcnt lgkmcnt(7)
	v_add_f32_e32 v10, v10, v15
	s_waitcnt lgkmcnt(6)
	v_add_f32_e32 v10, v10, v17
	s_waitcnt lgkmcnt(3)
	v_add_f32_e32 v10, v10, v19
	s_waitcnt lgkmcnt(2)
	v_add_f32_e32 v10, v10, v21
	s_waitcnt lgkmcnt(1)
	v_add_f32_e32 v10, v10, v23
	s_waitcnt lgkmcnt(0)
	v_add_f32_e32 v11, v10, v25
	s_mov_b32 s2, 0x7f800000
	v_and_b32_e32 v10, 0x7f800000, v11
	v_cmp_ne_u32_e32 vcc, s2, v10
                                        ; implicit-def: $vgpr10
	s_and_saveexec_b64 s[2:3], vcc
	s_xor_b64 s[2:3], exec, s[2:3]
; %bb.549:
	v_bfe_u32 v10, v11, 16, 1
	s_movk_i32 s4, 0x7fff
	v_add3_u32 v10, v11, v10, s4
                                        ; implicit-def: $vgpr11
; %bb.550:
	s_andn2_saveexec_b64 s[2:3], s[2:3]
; %bb.551:
	v_mov_b32_e32 v10, 0
	v_or_b32_e32 v12, 0x10000, v11
	v_cmp_eq_u32_sdwa vcc, v11, v10 src0_sel:WORD_0 src1_sel:DWORD
	v_cndmask_b32_e32 v10, v12, v11, vcc
; %bb.552:
	s_or_b64 exec, exec, s[2:3]
	s_lshl_b32 s2, s17, 1
	s_ashr_i32 s3, s2, 31
	s_lshl_b64 s[2:3], s[2:3], 1
	v_mov_b32_e32 v11, s3
	v_add_co_u32_e32 v12, vcc, s2, v0
	v_addc_co_u32_e32 v13, vcc, v1, v11, vcc
	global_store_short_d16_hi v[12:13], v10, off
.LBB8_553:
	s_or_b64 exec, exec, s[0:1]
	v_or_b32_e32 v10, 3, v27
	v_cmp_gt_i32_e32 vcc, s16, v10
	s_and_b64 exec, exec, vcc
	s_cbranch_execz .LBB8_559
; %bb.554:
	v_add_f32_e32 v2, 0, v2
	v_add_f32_e32 v2, v2, v3
	;; [unrolled: 1-line block ×4, first 2 shown]
	s_waitcnt lgkmcnt(5)
	v_add_f32_e32 v2, v2, v6
	v_add_f32_e32 v2, v2, v7
	s_waitcnt lgkmcnt(4)
	v_add_f32_e32 v2, v2, v8
	v_add_f32_e32 v3, v2, v9
	s_mov_b32 s0, 0x7f800000
	v_and_b32_e32 v2, 0x7f800000, v3
	v_cmp_ne_u32_e32 vcc, s0, v2
                                        ; implicit-def: $vgpr2
	s_and_saveexec_b64 s[0:1], vcc
	s_xor_b64 s[0:1], exec, s[0:1]
; %bb.555:
	v_bfe_u32 v2, v3, 16, 1
	s_movk_i32 s2, 0x7fff
	v_add3_u32 v2, v3, v2, s2
                                        ; implicit-def: $vgpr3
; %bb.556:
	s_andn2_saveexec_b64 s[0:1], s[0:1]
; %bb.557:
	v_mov_b32_e32 v2, 0
	v_or_b32_e32 v4, 0x10000, v3
	v_cmp_eq_u32_sdwa vcc, v3, v2 src0_sel:WORD_0 src1_sel:DWORD
	v_cndmask_b32_e32 v2, v4, v3, vcc
; %bb.558:
	s_or_b64 exec, exec, s[0:1]
	s_mul_i32 s0, s17, 3
	s_ashr_i32 s1, s0, 31
	s_lshl_b64 s[0:1], s[0:1], 1
	v_mov_b32_e32 v3, s1
	v_add_co_u32_e32 v0, vcc, s0, v0
	v_addc_co_u32_e32 v1, vcc, v1, v3, vcc
	global_store_short_d16_hi v[0:1], v2, off
.LBB8_559:
	s_endpgm
	.section	.rodata,"a",@progbits
	.p2align	6, 0x0
	.amdhsa_kernel _ZN2at6native30tinygemm_m16n8k16_chunk_kernelINS0_10ALayout_RMILNS0_14KReductionTypeE0EEENS0_15BLayout_TC_int4ILi8ELi128EEES4_Li8ELi8EEEvPKvS8_S8_Pviiiiii
		.amdhsa_group_segment_fixed_size 8192
		.amdhsa_private_segment_fixed_size 0
		.amdhsa_kernarg_size 56
		.amdhsa_user_sgpr_count 6
		.amdhsa_user_sgpr_private_segment_buffer 1
		.amdhsa_user_sgpr_dispatch_ptr 0
		.amdhsa_user_sgpr_queue_ptr 0
		.amdhsa_user_sgpr_kernarg_segment_ptr 1
		.amdhsa_user_sgpr_dispatch_id 0
		.amdhsa_user_sgpr_flat_scratch_init 0
		.amdhsa_user_sgpr_kernarg_preload_length 0
		.amdhsa_user_sgpr_kernarg_preload_offset 0
		.amdhsa_user_sgpr_private_segment_size 0
		.amdhsa_uses_dynamic_stack 0
		.amdhsa_system_sgpr_private_segment_wavefront_offset 0
		.amdhsa_system_sgpr_workgroup_id_x 1
		.amdhsa_system_sgpr_workgroup_id_y 1
		.amdhsa_system_sgpr_workgroup_id_z 1
		.amdhsa_system_sgpr_workgroup_info 0
		.amdhsa_system_vgpr_workitem_id 1
		.amdhsa_next_free_vgpr 72
		.amdhsa_next_free_sgpr 29
		.amdhsa_accum_offset 72
		.amdhsa_reserve_vcc 1
		.amdhsa_reserve_flat_scratch 0
		.amdhsa_float_round_mode_32 0
		.amdhsa_float_round_mode_16_64 0
		.amdhsa_float_denorm_mode_32 3
		.amdhsa_float_denorm_mode_16_64 3
		.amdhsa_dx10_clamp 1
		.amdhsa_ieee_mode 1
		.amdhsa_fp16_overflow 0
		.amdhsa_tg_split 0
		.amdhsa_exception_fp_ieee_invalid_op 0
		.amdhsa_exception_fp_denorm_src 0
		.amdhsa_exception_fp_ieee_div_zero 0
		.amdhsa_exception_fp_ieee_overflow 0
		.amdhsa_exception_fp_ieee_underflow 0
		.amdhsa_exception_fp_ieee_inexact 0
		.amdhsa_exception_int_div_zero 0
	.end_amdhsa_kernel
	.section	.text._ZN2at6native30tinygemm_m16n8k16_chunk_kernelINS0_10ALayout_RMILNS0_14KReductionTypeE0EEENS0_15BLayout_TC_int4ILi8ELi128EEES4_Li8ELi8EEEvPKvS8_S8_Pviiiiii,"axG",@progbits,_ZN2at6native30tinygemm_m16n8k16_chunk_kernelINS0_10ALayout_RMILNS0_14KReductionTypeE0EEENS0_15BLayout_TC_int4ILi8ELi128EEES4_Li8ELi8EEEvPKvS8_S8_Pviiiiii,comdat
.Lfunc_end8:
	.size	_ZN2at6native30tinygemm_m16n8k16_chunk_kernelINS0_10ALayout_RMILNS0_14KReductionTypeE0EEENS0_15BLayout_TC_int4ILi8ELi128EEES4_Li8ELi8EEEvPKvS8_S8_Pviiiiii, .Lfunc_end8-_ZN2at6native30tinygemm_m16n8k16_chunk_kernelINS0_10ALayout_RMILNS0_14KReductionTypeE0EEENS0_15BLayout_TC_int4ILi8ELi128EEES4_Li8ELi8EEEvPKvS8_S8_Pviiiiii
                                        ; -- End function
	.section	.AMDGPU.csdata,"",@progbits
; Kernel info:
; codeLenInByte = 14864
; NumSgprs: 33
; NumVgprs: 72
; NumAgprs: 0
; TotalNumVgprs: 72
; ScratchSize: 0
; MemoryBound: 0
; FloatMode: 240
; IeeeMode: 1
; LDSByteSize: 8192 bytes/workgroup (compile time only)
; SGPRBlocks: 4
; VGPRBlocks: 8
; NumSGPRsForWavesPerEU: 33
; NumVGPRsForWavesPerEU: 72
; AccumOffset: 72
; Occupancy: 7
; WaveLimiterHint : 0
; COMPUTE_PGM_RSRC2:SCRATCH_EN: 0
; COMPUTE_PGM_RSRC2:USER_SGPR: 6
; COMPUTE_PGM_RSRC2:TRAP_HANDLER: 0
; COMPUTE_PGM_RSRC2:TGID_X_EN: 1
; COMPUTE_PGM_RSRC2:TGID_Y_EN: 1
; COMPUTE_PGM_RSRC2:TGID_Z_EN: 1
; COMPUTE_PGM_RSRC2:TIDIG_COMP_CNT: 1
; COMPUTE_PGM_RSRC3_GFX90A:ACCUM_OFFSET: 17
; COMPUTE_PGM_RSRC3_GFX90A:TG_SPLIT: 0
	.section	.text._ZN2at6native30tinygemm_m16n8k16_chunk_kernelINS0_10ALayout_RMILNS0_14KReductionTypeE0EEENS0_15BLayout_TC_int4ILi2ELi256EEES4_Li8ELi8EEEvPKvS8_S8_Pviiiiii,"axG",@progbits,_ZN2at6native30tinygemm_m16n8k16_chunk_kernelINS0_10ALayout_RMILNS0_14KReductionTypeE0EEENS0_15BLayout_TC_int4ILi2ELi256EEES4_Li8ELi8EEEvPKvS8_S8_Pviiiiii,comdat
	.protected	_ZN2at6native30tinygemm_m16n8k16_chunk_kernelINS0_10ALayout_RMILNS0_14KReductionTypeE0EEENS0_15BLayout_TC_int4ILi2ELi256EEES4_Li8ELi8EEEvPKvS8_S8_Pviiiiii ; -- Begin function _ZN2at6native30tinygemm_m16n8k16_chunk_kernelINS0_10ALayout_RMILNS0_14KReductionTypeE0EEENS0_15BLayout_TC_int4ILi2ELi256EEES4_Li8ELi8EEEvPKvS8_S8_Pviiiiii
	.globl	_ZN2at6native30tinygemm_m16n8k16_chunk_kernelINS0_10ALayout_RMILNS0_14KReductionTypeE0EEENS0_15BLayout_TC_int4ILi2ELi256EEES4_Li8ELi8EEEvPKvS8_S8_Pviiiiii
	.p2align	8
	.type	_ZN2at6native30tinygemm_m16n8k16_chunk_kernelINS0_10ALayout_RMILNS0_14KReductionTypeE0EEENS0_15BLayout_TC_int4ILi2ELi256EEES4_Li8ELi8EEEvPKvS8_S8_Pviiiiii,@function
_ZN2at6native30tinygemm_m16n8k16_chunk_kernelINS0_10ALayout_RMILNS0_14KReductionTypeE0EEENS0_15BLayout_TC_int4ILi2ELi256EEES4_Li8ELi8EEEvPKvS8_S8_Pviiiiii: ; @_ZN2at6native30tinygemm_m16n8k16_chunk_kernelINS0_10ALayout_RMILNS0_14KReductionTypeE0EEENS0_15BLayout_TC_int4ILi2ELi256EEES4_Li8ELi8EEEvPKvS8_S8_Pviiiiii
; %bb.0:
	s_load_dwordx2 s[2:3], s[4:5], 0x30
	s_load_dwordx4 s[20:23], s[4:5], 0x0
	s_load_dwordx8 s[12:19], s[4:5], 0x10
	v_bfe_u32 v24, v0, 10, 10
	s_mov_b32 s24, 0
	s_waitcnt lgkmcnt(0)
	s_ashr_i32 s0, s3, 31
	s_lshr_b32 s0, s0, 29
	v_and_b32_e32 v26, 0x3ff, v0
	s_add_i32 s0, s3, s0
	v_lshlrev_b32_e32 v0, 3, v24
	s_mov_b32 s25, s24
	s_and_b32 s9, s0, -8
	v_lshl_add_u32 v28, s6, 6, v0
	s_mov_b32 s26, s24
	s_mov_b32 s27, s24
	v_pk_mov_b32 v[0:1], s[24:25], s[24:25] op_sel:[0,1]
	v_cmp_gt_i32_e32 vcc, s9, v28
	v_pk_mov_b32 v[2:3], s[26:27], s[26:27] op_sel:[0,1]
	v_and_b32_e32 v25, 15, v26
	v_lshrrev_b32_e32 v27, 2, v26
	s_and_saveexec_b64 s[4:5], vcc
	s_cbranch_execz .LBB9_268
; %bb.1:
	v_lshl_or_b32 v2, s8, 4, v25
	v_mul_lo_u32 v0, v2, s18
	v_ashrrev_i32_e32 v1, 31, v0
	v_lshlrev_b64 v[0:1], 1, v[0:1]
	s_lshr_b32 s0, s3, 31
	v_mov_b32_e32 v4, s21
	v_add_co_u32_e32 v29, vcc, s20, v0
	s_add_i32 s0, s3, s0
	v_and_b32_e32 v3, 0xfc, v27
	v_addc_co_u32_e32 v30, vcc, v4, v1, vcc
	s_ashr_i32 s19, s0, 1
	s_lshl_b32 s0, s6, 10
	v_lshlrev_b32_e32 v0, 7, v24
	v_mov_b32_e32 v32, 0
	v_cmp_gt_i32_e32 vcc, s16, v2
	s_mul_i32 s19, s19, s7
	v_lshl_or_b32 v31, s7, 4, v25
	s_lshl_b32 s26, s2, 4
	v_add3_u32 v4, s0, v0, v3
	s_mov_b64 s[10:11], 0
	v_mov_b32_e32 v33, 0xf000f
	v_mov_b32_e32 v34, 0x43004300
	s_mov_b32 s6, 0x7f800000
	s_movk_i32 s27, 0x7fff
	s_mov_b32 s28, 0x3020706
	v_mov_b32_e32 v0, 0
	v_mov_b32_e32 v1, v32
	;; [unrolled: 1-line block ×4, first 2 shown]
	s_branch .LBB9_3
.LBB9_2:                                ;   in Loop: Header=BB9_3 Depth=1
	s_or_b64 exec, exec, s[24:25]
	v_perm_b32 v37, v36, v37, s28
	v_perm_b32 v36, v5, v23, s28
	;; [unrolled: 1-line block ×4, first 2 shown]
	v_mfma_f32_16x16x16bf16_1k v[66:69], v[8:9], v[36:37], 0
	v_perm_b32 v9, v40, v41, s28
	v_perm_b32 v8, v38, v39, s28
	;; [unrolled: 1-line block ×6, first 2 shown]
	v_add_u32_e32 v28, 64, v28
	v_mfma_f32_16x16x16bf16_1k v[6:9], v[6:7], v[8:9], 0
	s_nop 2
	v_pk_add_f32 v[2:3], v[2:3], v[68:69]
	v_pk_add_f32 v[0:1], v[0:1], v[66:67]
	v_cmp_le_i32_e64 s[0:1], s9, v28
	s_or_b64 s[10:11], s[0:1], s[10:11]
	v_add_u32_e32 v4, 0x400, v4
	s_nop 2
	v_pk_add_f32 v[2:3], v[2:3], v[8:9]
	v_mfma_f32_16x16x16bf16_1k v[36:39], v[16:17], v[22:23], 0
	v_perm_b32 v17, v49, v50, s28
	v_perm_b32 v16, v47, v48, s28
	;; [unrolled: 1-line block ×4, first 2 shown]
	v_pk_add_f32 v[0:1], v[0:1], v[6:7]
	s_nop 5
	v_pk_add_f32 v[2:3], v[2:3], v[38:39]
	v_mfma_f32_16x16x16bf16_1k v[14:17], v[14:15], v[16:17], 0
	v_pk_add_f32 v[6:7], v[0:1], v[36:37]
	v_mfma_f32_16x16x16bf16_1k v[44:47], v[10:11], v[22:23], 0
	v_perm_b32 v11, v57, v58, s28
	v_perm_b32 v10, v55, v56, s28
	s_nop 6
	v_pk_add_f32 v[8:9], v[2:3], v[16:17]
	v_pk_add_f32 v[6:7], v[6:7], v[14:15]
	v_mfma_f32_16x16x16bf16_1k v[20:23], v[20:21], v[10:11], 0
	v_pk_add_f32 v[8:9], v[8:9], v[46:47]
	v_pk_add_f32 v[6:7], v[6:7], v[44:45]
	v_mfma_f32_16x16x16bf16_1k v[0:3], v[18:19], v[40:41], 0
	s_nop 7
	v_pk_add_f32 v[8:9], v[8:9], v[22:23]
	v_pk_add_f32 v[6:7], v[6:7], v[20:21]
	s_nop 0
	v_pk_add_f32 v[8:9], v[8:9], v[2:3]
	v_pk_add_f32 v[6:7], v[6:7], v[0:1]
	v_mfma_f32_16x16x16bf16_1k v[0:3], v[12:13], v[42:43], 0
	s_nop 7
	s_nop 2
	v_pk_add_f32 v[2:3], v[8:9], v[2:3]
	v_pk_add_f32 v[0:1], v[6:7], v[0:1]
	s_andn2_b64 exec, exec, s[10:11]
	s_cbranch_execz .LBB9_267
.LBB9_3:                                ; =>This Inner Loop Header: Depth=1
	v_ashrrev_i32_e32 v5, 31, v4
	v_lshlrev_b64 v[6:7], 1, v[4:5]
	v_add_co_u32_e64 v22, s[0:1], v29, v6
	v_addc_co_u32_e64 v23, s[0:1], v30, v7, s[0:1]
	v_mov_b32_e32 v8, 0
	v_mov_b32_e32 v9, 0
	v_mov_b32_e32 v6, 0
	v_mov_b32_e32 v7, 0
	s_and_saveexec_b64 s[0:1], vcc
	s_cbranch_execz .LBB9_5
; %bb.4:                                ;   in Loop: Header=BB9_3 Depth=1
	global_load_dwordx2 v[8:9], v[22:23], off
	global_load_dwordx2 v[6:7], v[22:23], off offset:32
.LBB9_5:                                ;   in Loop: Header=BB9_3 Depth=1
	s_or_b64 exec, exec, s[0:1]
	v_mov_b32_e32 v10, 0
	v_mov_b32_e32 v16, 0
	;; [unrolled: 1-line block ×5, first 2 shown]
	s_and_saveexec_b64 s[0:1], vcc
	s_cbranch_execz .LBB9_7
; %bb.6:                                ;   in Loop: Header=BB9_3 Depth=1
	global_load_dwordx2 v[16:17], v[22:23], off offset:64
	global_load_dwordx2 v[14:15], v[22:23], off offset:96
.LBB9_7:                                ;   in Loop: Header=BB9_3 Depth=1
	s_or_b64 exec, exec, s[0:1]
	v_mov_b32_e32 v11, 0
	v_mov_b32_e32 v20, 0
	;; [unrolled: 1-line block ×3, first 2 shown]
	s_and_saveexec_b64 s[0:1], vcc
	s_cbranch_execz .LBB9_9
; %bb.8:                                ;   in Loop: Header=BB9_3 Depth=1
	global_load_dwordx2 v[10:11], v[22:23], off offset:128
	global_load_dwordx2 v[20:21], v[22:23], off offset:160
.LBB9_9:                                ;   in Loop: Header=BB9_3 Depth=1
	s_or_b64 exec, exec, s[0:1]
	v_mov_b32_e32 v18, 0
	v_mov_b32_e32 v19, 0
	;; [unrolled: 1-line block ×4, first 2 shown]
	s_and_saveexec_b64 s[0:1], vcc
	s_cbranch_execz .LBB9_11
; %bb.10:                               ;   in Loop: Header=BB9_3 Depth=1
	global_load_dwordx2 v[18:19], v[22:23], off offset:192
	global_load_dwordx2 v[12:13], v[22:23], off offset:224
.LBB9_11:                               ;   in Loop: Header=BB9_3 Depth=1
	s_or_b64 exec, exec, s[0:1]
	v_lshrrev_b32_e32 v5, 1, v28
	v_add_u32_e32 v5, s19, v5
	v_lshl_add_u32 v22, v5, 6, v26
	v_ashrrev_i32_e32 v23, 31, v22
	v_lshlrev_b64 v[22:23], 2, v[22:23]
	v_mov_b32_e32 v5, s23
	v_add_co_u32_e64 v22, s[0:1], s22, v22
	v_addc_co_u32_e64 v23, s[0:1], v5, v23, s[0:1]
	v_ashrrev_i32_e32 v5, 31, v28
	v_lshrrev_b32_e32 v5, 28, v5
	v_add_u32_e32 v5, v28, v5
	v_ashrrev_i32_e32 v5, 4, v5
	v_mul_lo_u32 v5, s26, v5
	global_load_dword v35, v[22:23], off
	global_load_dword v43, v[22:23], off offset:256
	global_load_dword v51, v[22:23], off offset:512
	;; [unrolled: 1-line block ×3, first 2 shown]
	v_add_lshl_u32 v22, v31, v5, 1
	v_ashrrev_i32_e32 v23, 31, v22
	v_lshlrev_b64 v[22:23], 1, v[22:23]
	v_mov_b32_e32 v5, s13
	v_add_co_u32_e64 v22, s[0:1], s12, v22
	v_addc_co_u32_e64 v23, s[0:1], v5, v23, s[0:1]
	global_load_dword v5, v[22:23], off
	s_waitcnt vmcnt(4)
	;;#ASMSTART
	v_and_or_b32 v23, v35, v33, v34
	;;#ASMEND
	v_lshrrev_b32_e32 v22, 4, v35
	v_lshrrev_b32_e32 v36, 8, v35
	;;#ASMSTART
	v_and_or_b32 v37, v22, v33, v34
	;;#ASMEND
	v_lshlrev_b32_e32 v22, 16, v23
	;;#ASMSTART
	v_and_or_b32 v39, v36, v33, v34
	;;#ASMEND
	v_add_f32_e32 v36, 0xc3080000, v22
	v_and_b32_e32 v22, 0x7f800000, v36
	v_lshrrev_b32_e32 v35, 12, v35
	v_cmp_ne_u32_e64 s[0:1], s6, v22
	;;#ASMSTART
	v_and_or_b32 v35, v35, v33, v34
	;;#ASMEND
                                        ; implicit-def: $vgpr22
	s_and_saveexec_b64 s[24:25], s[0:1]
	s_xor_b64 s[0:1], exec, s[24:25]
; %bb.12:                               ;   in Loop: Header=BB9_3 Depth=1
	v_bfe_u32 v22, v36, 16, 1
	v_add3_u32 v22, v36, v22, s27
                                        ; implicit-def: $vgpr36
; %bb.13:                               ;   in Loop: Header=BB9_3 Depth=1
	s_andn2_saveexec_b64 s[24:25], s[0:1]
; %bb.14:                               ;   in Loop: Header=BB9_3 Depth=1
	v_or_b32_e32 v22, 0x10000, v36
	v_cmp_eq_u32_sdwa s[0:1], v36, v32 src0_sel:WORD_0 src1_sel:DWORD
	v_cndmask_b32_e64 v22, v22, v36, s[0:1]
; %bb.15:                               ;   in Loop: Header=BB9_3 Depth=1
	s_or_b64 exec, exec, s[24:25]
	v_and_b32_e32 v23, 0xffff0000, v23
	v_add_f32_e32 v36, 0xc3080000, v23
	v_and_b32_e32 v23, 0x7f800000, v36
	v_cmp_ne_u32_e64 s[0:1], s6, v23
                                        ; implicit-def: $vgpr23
	s_and_saveexec_b64 s[24:25], s[0:1]
	s_xor_b64 s[0:1], exec, s[24:25]
; %bb.16:                               ;   in Loop: Header=BB9_3 Depth=1
	v_bfe_u32 v23, v36, 16, 1
	v_add3_u32 v23, v36, v23, s27
                                        ; implicit-def: $vgpr36
; %bb.17:                               ;   in Loop: Header=BB9_3 Depth=1
	s_andn2_saveexec_b64 s[24:25], s[0:1]
; %bb.18:                               ;   in Loop: Header=BB9_3 Depth=1
	v_or_b32_e32 v23, 0x10000, v36
	v_cmp_eq_u32_sdwa s[0:1], v36, v32 src0_sel:WORD_0 src1_sel:DWORD
	v_cndmask_b32_e64 v23, v23, v36, s[0:1]
; %bb.19:                               ;   in Loop: Header=BB9_3 Depth=1
	s_or_b64 exec, exec, s[24:25]
	v_lshlrev_b32_e32 v36, 16, v37
	v_add_f32_e32 v38, 0xc3080000, v36
	v_and_b32_e32 v36, 0x7f800000, v38
	v_cmp_ne_u32_e64 s[0:1], s6, v36
                                        ; implicit-def: $vgpr36
	s_and_saveexec_b64 s[24:25], s[0:1]
	s_xor_b64 s[0:1], exec, s[24:25]
; %bb.20:                               ;   in Loop: Header=BB9_3 Depth=1
	v_bfe_u32 v36, v38, 16, 1
	v_add3_u32 v36, v38, v36, s27
                                        ; implicit-def: $vgpr38
; %bb.21:                               ;   in Loop: Header=BB9_3 Depth=1
	s_andn2_saveexec_b64 s[24:25], s[0:1]
; %bb.22:                               ;   in Loop: Header=BB9_3 Depth=1
	v_or_b32_e32 v36, 0x10000, v38
	v_cmp_eq_u32_sdwa s[0:1], v38, v32 src0_sel:WORD_0 src1_sel:DWORD
	v_cndmask_b32_e64 v36, v36, v38, s[0:1]
; %bb.23:                               ;   in Loop: Header=BB9_3 Depth=1
	s_or_b64 exec, exec, s[24:25]
	v_and_b32_e32 v37, 0xffff0000, v37
	v_add_f32_e32 v38, 0xc3080000, v37
	v_and_b32_e32 v37, 0x7f800000, v38
	v_cmp_ne_u32_e64 s[0:1], s6, v37
                                        ; implicit-def: $vgpr37
	s_and_saveexec_b64 s[24:25], s[0:1]
	s_xor_b64 s[0:1], exec, s[24:25]
; %bb.24:                               ;   in Loop: Header=BB9_3 Depth=1
	v_bfe_u32 v37, v38, 16, 1
	v_add3_u32 v37, v38, v37, s27
                                        ; implicit-def: $vgpr38
; %bb.25:                               ;   in Loop: Header=BB9_3 Depth=1
	s_andn2_saveexec_b64 s[24:25], s[0:1]
; %bb.26:                               ;   in Loop: Header=BB9_3 Depth=1
	v_or_b32_e32 v37, 0x10000, v38
	v_cmp_eq_u32_sdwa s[0:1], v38, v32 src0_sel:WORD_0 src1_sel:DWORD
	v_cndmask_b32_e64 v37, v37, v38, s[0:1]
; %bb.27:                               ;   in Loop: Header=BB9_3 Depth=1
	s_or_b64 exec, exec, s[24:25]
	v_lshlrev_b32_e32 v38, 16, v39
	v_add_f32_e32 v40, 0xc3080000, v38
	v_and_b32_e32 v38, 0x7f800000, v40
	v_cmp_ne_u32_e64 s[0:1], s6, v38
                                        ; implicit-def: $vgpr38
	s_and_saveexec_b64 s[24:25], s[0:1]
	s_xor_b64 s[0:1], exec, s[24:25]
; %bb.28:                               ;   in Loop: Header=BB9_3 Depth=1
	v_bfe_u32 v38, v40, 16, 1
	v_add3_u32 v38, v40, v38, s27
                                        ; implicit-def: $vgpr40
; %bb.29:                               ;   in Loop: Header=BB9_3 Depth=1
	s_andn2_saveexec_b64 s[24:25], s[0:1]
; %bb.30:                               ;   in Loop: Header=BB9_3 Depth=1
	v_or_b32_e32 v38, 0x10000, v40
	v_cmp_eq_u32_sdwa s[0:1], v40, v32 src0_sel:WORD_0 src1_sel:DWORD
	v_cndmask_b32_e64 v38, v38, v40, s[0:1]
; %bb.31:                               ;   in Loop: Header=BB9_3 Depth=1
	s_or_b64 exec, exec, s[24:25]
	v_and_b32_e32 v39, 0xffff0000, v39
	v_add_f32_e32 v40, 0xc3080000, v39
	v_and_b32_e32 v39, 0x7f800000, v40
	v_cmp_ne_u32_e64 s[0:1], s6, v39
                                        ; implicit-def: $vgpr39
	s_and_saveexec_b64 s[24:25], s[0:1]
	s_xor_b64 s[0:1], exec, s[24:25]
; %bb.32:                               ;   in Loop: Header=BB9_3 Depth=1
	v_bfe_u32 v39, v40, 16, 1
	v_add3_u32 v39, v40, v39, s27
                                        ; implicit-def: $vgpr40
; %bb.33:                               ;   in Loop: Header=BB9_3 Depth=1
	s_andn2_saveexec_b64 s[24:25], s[0:1]
; %bb.34:                               ;   in Loop: Header=BB9_3 Depth=1
	v_or_b32_e32 v39, 0x10000, v40
	v_cmp_eq_u32_sdwa s[0:1], v40, v32 src0_sel:WORD_0 src1_sel:DWORD
	v_cndmask_b32_e64 v39, v39, v40, s[0:1]
; %bb.35:                               ;   in Loop: Header=BB9_3 Depth=1
	s_or_b64 exec, exec, s[24:25]
	v_lshlrev_b32_e32 v40, 16, v35
	v_add_f32_e32 v41, 0xc3080000, v40
	v_and_b32_e32 v40, 0x7f800000, v41
	v_cmp_ne_u32_e64 s[0:1], s6, v40
                                        ; implicit-def: $vgpr40
	s_and_saveexec_b64 s[24:25], s[0:1]
	s_xor_b64 s[0:1], exec, s[24:25]
; %bb.36:                               ;   in Loop: Header=BB9_3 Depth=1
	v_bfe_u32 v40, v41, 16, 1
	v_add3_u32 v40, v41, v40, s27
                                        ; implicit-def: $vgpr41
; %bb.37:                               ;   in Loop: Header=BB9_3 Depth=1
	s_andn2_saveexec_b64 s[24:25], s[0:1]
; %bb.38:                               ;   in Loop: Header=BB9_3 Depth=1
	v_or_b32_e32 v40, 0x10000, v41
	v_cmp_eq_u32_sdwa s[0:1], v41, v32 src0_sel:WORD_0 src1_sel:DWORD
	v_cndmask_b32_e64 v40, v40, v41, s[0:1]
; %bb.39:                               ;   in Loop: Header=BB9_3 Depth=1
	s_or_b64 exec, exec, s[24:25]
	v_and_b32_e32 v35, 0xffff0000, v35
	v_add_f32_e32 v35, 0xc3080000, v35
	v_and_b32_e32 v41, 0x7f800000, v35
	v_cmp_ne_u32_e64 s[0:1], s6, v41
                                        ; implicit-def: $vgpr41
	s_and_saveexec_b64 s[24:25], s[0:1]
	s_xor_b64 s[0:1], exec, s[24:25]
; %bb.40:                               ;   in Loop: Header=BB9_3 Depth=1
	v_bfe_u32 v41, v35, 16, 1
	v_add3_u32 v41, v35, v41, s27
                                        ; implicit-def: $vgpr35
; %bb.41:                               ;   in Loop: Header=BB9_3 Depth=1
	s_andn2_saveexec_b64 s[24:25], s[0:1]
; %bb.42:                               ;   in Loop: Header=BB9_3 Depth=1
	v_or_b32_e32 v41, 0x10000, v35
	v_cmp_eq_u32_sdwa s[0:1], v35, v32 src0_sel:WORD_0 src1_sel:DWORD
	v_cndmask_b32_e64 v41, v41, v35, s[0:1]
; %bb.43:                               ;   in Loop: Header=BB9_3 Depth=1
	s_or_b64 exec, exec, s[24:25]
	v_and_b32_e32 v44, 0xffff0000, v22
	s_waitcnt vmcnt(0)
	v_lshlrev_b32_e32 v35, 16, v5
	v_and_b32_e32 v22, 0xffff0000, v5
	v_fma_f32 v44, v44, v35, v22
	v_and_b32_e32 v5, 0x7f800000, v44
	v_cmp_ne_u32_e64 s[0:1], s6, v5
                                        ; implicit-def: $vgpr5
	s_and_saveexec_b64 s[24:25], s[0:1]
	s_xor_b64 s[0:1], exec, s[24:25]
; %bb.44:                               ;   in Loop: Header=BB9_3 Depth=1
	v_bfe_u32 v5, v44, 16, 1
	v_add3_u32 v5, v44, v5, s27
                                        ; implicit-def: $vgpr44
; %bb.45:                               ;   in Loop: Header=BB9_3 Depth=1
	s_andn2_saveexec_b64 s[24:25], s[0:1]
; %bb.46:                               ;   in Loop: Header=BB9_3 Depth=1
	v_or_b32_e32 v5, 0x10000, v44
	v_cmp_eq_u32_sdwa s[0:1], v44, v32 src0_sel:WORD_0 src1_sel:DWORD
	v_cndmask_b32_e64 v5, v5, v44, s[0:1]
; %bb.47:                               ;   in Loop: Header=BB9_3 Depth=1
	s_or_b64 exec, exec, s[24:25]
	v_and_b32_e32 v23, 0xffff0000, v23
	v_fma_f32 v44, v23, v35, v22
	v_and_b32_e32 v23, 0x7f800000, v44
	v_cmp_ne_u32_e64 s[0:1], s6, v23
                                        ; implicit-def: $vgpr23
	s_and_saveexec_b64 s[24:25], s[0:1]
	s_xor_b64 s[0:1], exec, s[24:25]
; %bb.48:                               ;   in Loop: Header=BB9_3 Depth=1
	v_bfe_u32 v23, v44, 16, 1
	v_add3_u32 v23, v44, v23, s27
                                        ; implicit-def: $vgpr44
; %bb.49:                               ;   in Loop: Header=BB9_3 Depth=1
	s_andn2_saveexec_b64 s[24:25], s[0:1]
; %bb.50:                               ;   in Loop: Header=BB9_3 Depth=1
	v_or_b32_e32 v23, 0x10000, v44
	v_cmp_eq_u32_sdwa s[0:1], v44, v32 src0_sel:WORD_0 src1_sel:DWORD
	v_cndmask_b32_e64 v23, v23, v44, s[0:1]
; %bb.51:                               ;   in Loop: Header=BB9_3 Depth=1
	s_or_b64 exec, exec, s[24:25]
	v_and_b32_e32 v36, 0xffff0000, v36
	v_fma_f32 v44, v36, v35, v22
	v_and_b32_e32 v36, 0x7f800000, v44
	v_cmp_ne_u32_e64 s[0:1], s6, v36
                                        ; implicit-def: $vgpr36
	s_and_saveexec_b64 s[24:25], s[0:1]
	s_xor_b64 s[0:1], exec, s[24:25]
; %bb.52:                               ;   in Loop: Header=BB9_3 Depth=1
	v_bfe_u32 v36, v44, 16, 1
	v_add3_u32 v36, v44, v36, s27
                                        ; implicit-def: $vgpr44
; %bb.53:                               ;   in Loop: Header=BB9_3 Depth=1
	s_andn2_saveexec_b64 s[24:25], s[0:1]
; %bb.54:                               ;   in Loop: Header=BB9_3 Depth=1
	v_or_b32_e32 v36, 0x10000, v44
	v_cmp_eq_u32_sdwa s[0:1], v44, v32 src0_sel:WORD_0 src1_sel:DWORD
	v_cndmask_b32_e64 v36, v36, v44, s[0:1]
; %bb.55:                               ;   in Loop: Header=BB9_3 Depth=1
	s_or_b64 exec, exec, s[24:25]
	v_and_b32_e32 v37, 0xffff0000, v37
	v_fma_f32 v44, v37, v35, v22
	v_and_b32_e32 v37, 0x7f800000, v44
	v_cmp_ne_u32_e64 s[0:1], s6, v37
                                        ; implicit-def: $vgpr37
	s_and_saveexec_b64 s[24:25], s[0:1]
	s_xor_b64 s[0:1], exec, s[24:25]
; %bb.56:                               ;   in Loop: Header=BB9_3 Depth=1
	v_bfe_u32 v37, v44, 16, 1
	v_add3_u32 v37, v44, v37, s27
                                        ; implicit-def: $vgpr44
; %bb.57:                               ;   in Loop: Header=BB9_3 Depth=1
	s_andn2_saveexec_b64 s[24:25], s[0:1]
; %bb.58:                               ;   in Loop: Header=BB9_3 Depth=1
	v_or_b32_e32 v37, 0x10000, v44
	v_cmp_eq_u32_sdwa s[0:1], v44, v32 src0_sel:WORD_0 src1_sel:DWORD
	v_cndmask_b32_e64 v37, v37, v44, s[0:1]
; %bb.59:                               ;   in Loop: Header=BB9_3 Depth=1
	s_or_b64 exec, exec, s[24:25]
	v_and_b32_e32 v38, 0xffff0000, v38
	v_fma_f32 v44, v38, v35, v22
	v_and_b32_e32 v38, 0x7f800000, v44
	v_cmp_ne_u32_e64 s[0:1], s6, v38
                                        ; implicit-def: $vgpr38
	s_and_saveexec_b64 s[24:25], s[0:1]
	s_xor_b64 s[0:1], exec, s[24:25]
; %bb.60:                               ;   in Loop: Header=BB9_3 Depth=1
	v_bfe_u32 v38, v44, 16, 1
	v_add3_u32 v38, v44, v38, s27
                                        ; implicit-def: $vgpr44
; %bb.61:                               ;   in Loop: Header=BB9_3 Depth=1
	s_andn2_saveexec_b64 s[24:25], s[0:1]
; %bb.62:                               ;   in Loop: Header=BB9_3 Depth=1
	v_or_b32_e32 v38, 0x10000, v44
	v_cmp_eq_u32_sdwa s[0:1], v44, v32 src0_sel:WORD_0 src1_sel:DWORD
	v_cndmask_b32_e64 v38, v38, v44, s[0:1]
; %bb.63:                               ;   in Loop: Header=BB9_3 Depth=1
	s_or_b64 exec, exec, s[24:25]
	v_and_b32_e32 v39, 0xffff0000, v39
	v_fma_f32 v44, v39, v35, v22
	v_and_b32_e32 v39, 0x7f800000, v44
	v_cmp_ne_u32_e64 s[0:1], s6, v39
                                        ; implicit-def: $vgpr39
	s_and_saveexec_b64 s[24:25], s[0:1]
	s_xor_b64 s[0:1], exec, s[24:25]
; %bb.64:                               ;   in Loop: Header=BB9_3 Depth=1
	v_bfe_u32 v39, v44, 16, 1
	v_add3_u32 v39, v44, v39, s27
                                        ; implicit-def: $vgpr44
; %bb.65:                               ;   in Loop: Header=BB9_3 Depth=1
	s_andn2_saveexec_b64 s[24:25], s[0:1]
; %bb.66:                               ;   in Loop: Header=BB9_3 Depth=1
	v_or_b32_e32 v39, 0x10000, v44
	v_cmp_eq_u32_sdwa s[0:1], v44, v32 src0_sel:WORD_0 src1_sel:DWORD
	v_cndmask_b32_e64 v39, v39, v44, s[0:1]
; %bb.67:                               ;   in Loop: Header=BB9_3 Depth=1
	s_or_b64 exec, exec, s[24:25]
	v_and_b32_e32 v40, 0xffff0000, v40
	v_fma_f32 v44, v40, v35, v22
	v_and_b32_e32 v40, 0x7f800000, v44
	v_cmp_ne_u32_e64 s[0:1], s6, v40
                                        ; implicit-def: $vgpr40
	s_and_saveexec_b64 s[24:25], s[0:1]
	s_xor_b64 s[0:1], exec, s[24:25]
; %bb.68:                               ;   in Loop: Header=BB9_3 Depth=1
	v_bfe_u32 v40, v44, 16, 1
	v_add3_u32 v40, v44, v40, s27
                                        ; implicit-def: $vgpr44
; %bb.69:                               ;   in Loop: Header=BB9_3 Depth=1
	s_andn2_saveexec_b64 s[24:25], s[0:1]
; %bb.70:                               ;   in Loop: Header=BB9_3 Depth=1
	v_or_b32_e32 v40, 0x10000, v44
	v_cmp_eq_u32_sdwa s[0:1], v44, v32 src0_sel:WORD_0 src1_sel:DWORD
	v_cndmask_b32_e64 v40, v40, v44, s[0:1]
; %bb.71:                               ;   in Loop: Header=BB9_3 Depth=1
	s_or_b64 exec, exec, s[24:25]
	v_and_b32_e32 v41, 0xffff0000, v41
	v_fma_f32 v44, v41, v35, v22
	v_and_b32_e32 v41, 0x7f800000, v44
	v_cmp_ne_u32_e64 s[0:1], s6, v41
                                        ; implicit-def: $vgpr41
	s_and_saveexec_b64 s[24:25], s[0:1]
	s_xor_b64 s[0:1], exec, s[24:25]
; %bb.72:                               ;   in Loop: Header=BB9_3 Depth=1
	v_bfe_u32 v41, v44, 16, 1
	v_add3_u32 v41, v44, v41, s27
                                        ; implicit-def: $vgpr44
; %bb.73:                               ;   in Loop: Header=BB9_3 Depth=1
	s_andn2_saveexec_b64 s[24:25], s[0:1]
; %bb.74:                               ;   in Loop: Header=BB9_3 Depth=1
	v_or_b32_e32 v41, 0x10000, v44
	v_cmp_eq_u32_sdwa s[0:1], v44, v32 src0_sel:WORD_0 src1_sel:DWORD
	v_cndmask_b32_e64 v41, v41, v44, s[0:1]
; %bb.75:                               ;   in Loop: Header=BB9_3 Depth=1
	s_or_b64 exec, exec, s[24:25]
	v_lshrrev_b32_e32 v45, 4, v43
	;;#ASMSTART
	v_and_or_b32 v44, v43, v33, v34
	;;#ASMEND
	;;#ASMSTART
	v_and_or_b32 v46, v45, v33, v34
	;;#ASMEND
	v_lshrrev_b32_e32 v45, 8, v43
	v_lshrrev_b32_e32 v43, 12, v43
	;;#ASMSTART
	v_and_or_b32 v48, v45, v33, v34
	;;#ASMEND
	;;#ASMSTART
	v_and_or_b32 v50, v43, v33, v34
	;;#ASMEND
	v_lshlrev_b32_e32 v43, 16, v44
	v_add_f32_e32 v45, 0xc3080000, v43
	v_and_b32_e32 v43, 0x7f800000, v45
	v_cmp_ne_u32_e64 s[0:1], s6, v43
                                        ; implicit-def: $vgpr43
	s_and_saveexec_b64 s[24:25], s[0:1]
	s_xor_b64 s[0:1], exec, s[24:25]
; %bb.76:                               ;   in Loop: Header=BB9_3 Depth=1
	v_bfe_u32 v43, v45, 16, 1
	v_add3_u32 v43, v45, v43, s27
                                        ; implicit-def: $vgpr45
; %bb.77:                               ;   in Loop: Header=BB9_3 Depth=1
	s_andn2_saveexec_b64 s[24:25], s[0:1]
; %bb.78:                               ;   in Loop: Header=BB9_3 Depth=1
	v_or_b32_e32 v43, 0x10000, v45
	v_cmp_eq_u32_sdwa s[0:1], v45, v32 src0_sel:WORD_0 src1_sel:DWORD
	v_cndmask_b32_e64 v43, v43, v45, s[0:1]
; %bb.79:                               ;   in Loop: Header=BB9_3 Depth=1
	s_or_b64 exec, exec, s[24:25]
	v_and_b32_e32 v44, 0xffff0000, v44
	v_add_f32_e32 v45, 0xc3080000, v44
	v_and_b32_e32 v44, 0x7f800000, v45
	v_cmp_ne_u32_e64 s[0:1], s6, v44
                                        ; implicit-def: $vgpr44
	s_and_saveexec_b64 s[24:25], s[0:1]
	s_xor_b64 s[0:1], exec, s[24:25]
; %bb.80:                               ;   in Loop: Header=BB9_3 Depth=1
	v_bfe_u32 v44, v45, 16, 1
	v_add3_u32 v44, v45, v44, s27
                                        ; implicit-def: $vgpr45
; %bb.81:                               ;   in Loop: Header=BB9_3 Depth=1
	s_andn2_saveexec_b64 s[24:25], s[0:1]
; %bb.82:                               ;   in Loop: Header=BB9_3 Depth=1
	v_or_b32_e32 v44, 0x10000, v45
	v_cmp_eq_u32_sdwa s[0:1], v45, v32 src0_sel:WORD_0 src1_sel:DWORD
	v_cndmask_b32_e64 v44, v44, v45, s[0:1]
; %bb.83:                               ;   in Loop: Header=BB9_3 Depth=1
	s_or_b64 exec, exec, s[24:25]
	v_lshlrev_b32_e32 v45, 16, v46
	v_add_f32_e32 v47, 0xc3080000, v45
	v_and_b32_e32 v45, 0x7f800000, v47
	v_cmp_ne_u32_e64 s[0:1], s6, v45
                                        ; implicit-def: $vgpr45
	s_and_saveexec_b64 s[24:25], s[0:1]
	s_xor_b64 s[0:1], exec, s[24:25]
; %bb.84:                               ;   in Loop: Header=BB9_3 Depth=1
	v_bfe_u32 v45, v47, 16, 1
	v_add3_u32 v45, v47, v45, s27
                                        ; implicit-def: $vgpr47
; %bb.85:                               ;   in Loop: Header=BB9_3 Depth=1
	s_andn2_saveexec_b64 s[24:25], s[0:1]
; %bb.86:                               ;   in Loop: Header=BB9_3 Depth=1
	v_or_b32_e32 v45, 0x10000, v47
	v_cmp_eq_u32_sdwa s[0:1], v47, v32 src0_sel:WORD_0 src1_sel:DWORD
	v_cndmask_b32_e64 v45, v45, v47, s[0:1]
; %bb.87:                               ;   in Loop: Header=BB9_3 Depth=1
	s_or_b64 exec, exec, s[24:25]
	v_and_b32_e32 v46, 0xffff0000, v46
	v_add_f32_e32 v47, 0xc3080000, v46
	v_and_b32_e32 v46, 0x7f800000, v47
	v_cmp_ne_u32_e64 s[0:1], s6, v46
                                        ; implicit-def: $vgpr46
	s_and_saveexec_b64 s[24:25], s[0:1]
	s_xor_b64 s[0:1], exec, s[24:25]
; %bb.88:                               ;   in Loop: Header=BB9_3 Depth=1
	v_bfe_u32 v46, v47, 16, 1
	v_add3_u32 v46, v47, v46, s27
                                        ; implicit-def: $vgpr47
; %bb.89:                               ;   in Loop: Header=BB9_3 Depth=1
	s_andn2_saveexec_b64 s[24:25], s[0:1]
; %bb.90:                               ;   in Loop: Header=BB9_3 Depth=1
	v_or_b32_e32 v46, 0x10000, v47
	v_cmp_eq_u32_sdwa s[0:1], v47, v32 src0_sel:WORD_0 src1_sel:DWORD
	v_cndmask_b32_e64 v46, v46, v47, s[0:1]
; %bb.91:                               ;   in Loop: Header=BB9_3 Depth=1
	s_or_b64 exec, exec, s[24:25]
	v_lshlrev_b32_e32 v47, 16, v48
	v_add_f32_e32 v49, 0xc3080000, v47
	v_and_b32_e32 v47, 0x7f800000, v49
	v_cmp_ne_u32_e64 s[0:1], s6, v47
                                        ; implicit-def: $vgpr47
	s_and_saveexec_b64 s[24:25], s[0:1]
	s_xor_b64 s[0:1], exec, s[24:25]
; %bb.92:                               ;   in Loop: Header=BB9_3 Depth=1
	v_bfe_u32 v47, v49, 16, 1
	v_add3_u32 v47, v49, v47, s27
                                        ; implicit-def: $vgpr49
; %bb.93:                               ;   in Loop: Header=BB9_3 Depth=1
	s_andn2_saveexec_b64 s[24:25], s[0:1]
; %bb.94:                               ;   in Loop: Header=BB9_3 Depth=1
	v_or_b32_e32 v47, 0x10000, v49
	v_cmp_eq_u32_sdwa s[0:1], v49, v32 src0_sel:WORD_0 src1_sel:DWORD
	v_cndmask_b32_e64 v47, v47, v49, s[0:1]
; %bb.95:                               ;   in Loop: Header=BB9_3 Depth=1
	s_or_b64 exec, exec, s[24:25]
	v_and_b32_e32 v48, 0xffff0000, v48
	v_add_f32_e32 v49, 0xc3080000, v48
	v_and_b32_e32 v48, 0x7f800000, v49
	v_cmp_ne_u32_e64 s[0:1], s6, v48
                                        ; implicit-def: $vgpr48
	s_and_saveexec_b64 s[24:25], s[0:1]
	s_xor_b64 s[0:1], exec, s[24:25]
; %bb.96:                               ;   in Loop: Header=BB9_3 Depth=1
	v_bfe_u32 v48, v49, 16, 1
	v_add3_u32 v48, v49, v48, s27
                                        ; implicit-def: $vgpr49
; %bb.97:                               ;   in Loop: Header=BB9_3 Depth=1
	s_andn2_saveexec_b64 s[24:25], s[0:1]
; %bb.98:                               ;   in Loop: Header=BB9_3 Depth=1
	v_or_b32_e32 v48, 0x10000, v49
	v_cmp_eq_u32_sdwa s[0:1], v49, v32 src0_sel:WORD_0 src1_sel:DWORD
	v_cndmask_b32_e64 v48, v48, v49, s[0:1]
; %bb.99:                               ;   in Loop: Header=BB9_3 Depth=1
	s_or_b64 exec, exec, s[24:25]
	v_lshlrev_b32_e32 v49, 16, v50
	v_add_f32_e32 v52, 0xc3080000, v49
	v_and_b32_e32 v49, 0x7f800000, v52
	v_cmp_ne_u32_e64 s[0:1], s6, v49
                                        ; implicit-def: $vgpr49
	s_and_saveexec_b64 s[24:25], s[0:1]
	s_xor_b64 s[0:1], exec, s[24:25]
; %bb.100:                              ;   in Loop: Header=BB9_3 Depth=1
	v_bfe_u32 v49, v52, 16, 1
	v_add3_u32 v49, v52, v49, s27
                                        ; implicit-def: $vgpr52
; %bb.101:                              ;   in Loop: Header=BB9_3 Depth=1
	s_andn2_saveexec_b64 s[24:25], s[0:1]
; %bb.102:                              ;   in Loop: Header=BB9_3 Depth=1
	v_or_b32_e32 v49, 0x10000, v52
	v_cmp_eq_u32_sdwa s[0:1], v52, v32 src0_sel:WORD_0 src1_sel:DWORD
	v_cndmask_b32_e64 v49, v49, v52, s[0:1]
; %bb.103:                              ;   in Loop: Header=BB9_3 Depth=1
	s_or_b64 exec, exec, s[24:25]
	v_and_b32_e32 v50, 0xffff0000, v50
	v_add_f32_e32 v52, 0xc3080000, v50
	v_and_b32_e32 v50, 0x7f800000, v52
	v_cmp_ne_u32_e64 s[0:1], s6, v50
                                        ; implicit-def: $vgpr50
	s_and_saveexec_b64 s[24:25], s[0:1]
	s_xor_b64 s[0:1], exec, s[24:25]
; %bb.104:                              ;   in Loop: Header=BB9_3 Depth=1
	v_bfe_u32 v50, v52, 16, 1
	v_add3_u32 v50, v52, v50, s27
                                        ; implicit-def: $vgpr52
; %bb.105:                              ;   in Loop: Header=BB9_3 Depth=1
	s_andn2_saveexec_b64 s[24:25], s[0:1]
; %bb.106:                              ;   in Loop: Header=BB9_3 Depth=1
	v_or_b32_e32 v50, 0x10000, v52
	v_cmp_eq_u32_sdwa s[0:1], v52, v32 src0_sel:WORD_0 src1_sel:DWORD
	v_cndmask_b32_e64 v50, v50, v52, s[0:1]
; %bb.107:                              ;   in Loop: Header=BB9_3 Depth=1
	s_or_b64 exec, exec, s[24:25]
	v_and_b32_e32 v43, 0xffff0000, v43
	v_fma_f32 v52, v43, v35, v22
	v_and_b32_e32 v43, 0x7f800000, v52
	v_cmp_ne_u32_e64 s[0:1], s6, v43
                                        ; implicit-def: $vgpr43
	s_and_saveexec_b64 s[24:25], s[0:1]
	s_xor_b64 s[0:1], exec, s[24:25]
; %bb.108:                              ;   in Loop: Header=BB9_3 Depth=1
	v_bfe_u32 v43, v52, 16, 1
	v_add3_u32 v43, v52, v43, s27
                                        ; implicit-def: $vgpr52
; %bb.109:                              ;   in Loop: Header=BB9_3 Depth=1
	s_andn2_saveexec_b64 s[24:25], s[0:1]
; %bb.110:                              ;   in Loop: Header=BB9_3 Depth=1
	v_or_b32_e32 v43, 0x10000, v52
	v_cmp_eq_u32_sdwa s[0:1], v52, v32 src0_sel:WORD_0 src1_sel:DWORD
	v_cndmask_b32_e64 v43, v43, v52, s[0:1]
; %bb.111:                              ;   in Loop: Header=BB9_3 Depth=1
	s_or_b64 exec, exec, s[24:25]
	v_and_b32_e32 v44, 0xffff0000, v44
	v_fma_f32 v52, v44, v35, v22
	v_and_b32_e32 v44, 0x7f800000, v52
	v_cmp_ne_u32_e64 s[0:1], s6, v44
                                        ; implicit-def: $vgpr44
	s_and_saveexec_b64 s[24:25], s[0:1]
	s_xor_b64 s[0:1], exec, s[24:25]
; %bb.112:                              ;   in Loop: Header=BB9_3 Depth=1
	v_bfe_u32 v44, v52, 16, 1
	v_add3_u32 v44, v52, v44, s27
                                        ; implicit-def: $vgpr52
; %bb.113:                              ;   in Loop: Header=BB9_3 Depth=1
	s_andn2_saveexec_b64 s[24:25], s[0:1]
; %bb.114:                              ;   in Loop: Header=BB9_3 Depth=1
	v_or_b32_e32 v44, 0x10000, v52
	v_cmp_eq_u32_sdwa s[0:1], v52, v32 src0_sel:WORD_0 src1_sel:DWORD
	v_cndmask_b32_e64 v44, v44, v52, s[0:1]
; %bb.115:                              ;   in Loop: Header=BB9_3 Depth=1
	s_or_b64 exec, exec, s[24:25]
	v_and_b32_e32 v45, 0xffff0000, v45
	v_fma_f32 v52, v45, v35, v22
	v_and_b32_e32 v45, 0x7f800000, v52
	v_cmp_ne_u32_e64 s[0:1], s6, v45
                                        ; implicit-def: $vgpr45
	s_and_saveexec_b64 s[24:25], s[0:1]
	s_xor_b64 s[0:1], exec, s[24:25]
; %bb.116:                              ;   in Loop: Header=BB9_3 Depth=1
	v_bfe_u32 v45, v52, 16, 1
	v_add3_u32 v45, v52, v45, s27
                                        ; implicit-def: $vgpr52
; %bb.117:                              ;   in Loop: Header=BB9_3 Depth=1
	s_andn2_saveexec_b64 s[24:25], s[0:1]
; %bb.118:                              ;   in Loop: Header=BB9_3 Depth=1
	v_or_b32_e32 v45, 0x10000, v52
	v_cmp_eq_u32_sdwa s[0:1], v52, v32 src0_sel:WORD_0 src1_sel:DWORD
	v_cndmask_b32_e64 v45, v45, v52, s[0:1]
; %bb.119:                              ;   in Loop: Header=BB9_3 Depth=1
	s_or_b64 exec, exec, s[24:25]
	v_and_b32_e32 v46, 0xffff0000, v46
	v_fma_f32 v52, v46, v35, v22
	v_and_b32_e32 v46, 0x7f800000, v52
	v_cmp_ne_u32_e64 s[0:1], s6, v46
                                        ; implicit-def: $vgpr46
	s_and_saveexec_b64 s[24:25], s[0:1]
	s_xor_b64 s[0:1], exec, s[24:25]
; %bb.120:                              ;   in Loop: Header=BB9_3 Depth=1
	v_bfe_u32 v46, v52, 16, 1
	v_add3_u32 v46, v52, v46, s27
                                        ; implicit-def: $vgpr52
; %bb.121:                              ;   in Loop: Header=BB9_3 Depth=1
	s_andn2_saveexec_b64 s[24:25], s[0:1]
; %bb.122:                              ;   in Loop: Header=BB9_3 Depth=1
	v_or_b32_e32 v46, 0x10000, v52
	v_cmp_eq_u32_sdwa s[0:1], v52, v32 src0_sel:WORD_0 src1_sel:DWORD
	v_cndmask_b32_e64 v46, v46, v52, s[0:1]
; %bb.123:                              ;   in Loop: Header=BB9_3 Depth=1
	s_or_b64 exec, exec, s[24:25]
	v_and_b32_e32 v47, 0xffff0000, v47
	v_fma_f32 v52, v47, v35, v22
	v_and_b32_e32 v47, 0x7f800000, v52
	v_cmp_ne_u32_e64 s[0:1], s6, v47
                                        ; implicit-def: $vgpr47
	s_and_saveexec_b64 s[24:25], s[0:1]
	s_xor_b64 s[0:1], exec, s[24:25]
; %bb.124:                              ;   in Loop: Header=BB9_3 Depth=1
	v_bfe_u32 v47, v52, 16, 1
	v_add3_u32 v47, v52, v47, s27
                                        ; implicit-def: $vgpr52
; %bb.125:                              ;   in Loop: Header=BB9_3 Depth=1
	s_andn2_saveexec_b64 s[24:25], s[0:1]
; %bb.126:                              ;   in Loop: Header=BB9_3 Depth=1
	v_or_b32_e32 v47, 0x10000, v52
	v_cmp_eq_u32_sdwa s[0:1], v52, v32 src0_sel:WORD_0 src1_sel:DWORD
	v_cndmask_b32_e64 v47, v47, v52, s[0:1]
; %bb.127:                              ;   in Loop: Header=BB9_3 Depth=1
	s_or_b64 exec, exec, s[24:25]
	v_and_b32_e32 v48, 0xffff0000, v48
	v_fma_f32 v52, v48, v35, v22
	v_and_b32_e32 v48, 0x7f800000, v52
	v_cmp_ne_u32_e64 s[0:1], s6, v48
                                        ; implicit-def: $vgpr48
	s_and_saveexec_b64 s[24:25], s[0:1]
	s_xor_b64 s[0:1], exec, s[24:25]
; %bb.128:                              ;   in Loop: Header=BB9_3 Depth=1
	v_bfe_u32 v48, v52, 16, 1
	v_add3_u32 v48, v52, v48, s27
                                        ; implicit-def: $vgpr52
; %bb.129:                              ;   in Loop: Header=BB9_3 Depth=1
	s_andn2_saveexec_b64 s[24:25], s[0:1]
; %bb.130:                              ;   in Loop: Header=BB9_3 Depth=1
	v_or_b32_e32 v48, 0x10000, v52
	v_cmp_eq_u32_sdwa s[0:1], v52, v32 src0_sel:WORD_0 src1_sel:DWORD
	v_cndmask_b32_e64 v48, v48, v52, s[0:1]
; %bb.131:                              ;   in Loop: Header=BB9_3 Depth=1
	s_or_b64 exec, exec, s[24:25]
	v_and_b32_e32 v49, 0xffff0000, v49
	v_fma_f32 v52, v49, v35, v22
	v_and_b32_e32 v49, 0x7f800000, v52
	v_cmp_ne_u32_e64 s[0:1], s6, v49
                                        ; implicit-def: $vgpr49
	s_and_saveexec_b64 s[24:25], s[0:1]
	s_xor_b64 s[0:1], exec, s[24:25]
; %bb.132:                              ;   in Loop: Header=BB9_3 Depth=1
	v_bfe_u32 v49, v52, 16, 1
	v_add3_u32 v49, v52, v49, s27
                                        ; implicit-def: $vgpr52
; %bb.133:                              ;   in Loop: Header=BB9_3 Depth=1
	s_andn2_saveexec_b64 s[24:25], s[0:1]
; %bb.134:                              ;   in Loop: Header=BB9_3 Depth=1
	v_or_b32_e32 v49, 0x10000, v52
	v_cmp_eq_u32_sdwa s[0:1], v52, v32 src0_sel:WORD_0 src1_sel:DWORD
	v_cndmask_b32_e64 v49, v49, v52, s[0:1]
; %bb.135:                              ;   in Loop: Header=BB9_3 Depth=1
	s_or_b64 exec, exec, s[24:25]
	v_and_b32_e32 v50, 0xffff0000, v50
	v_fma_f32 v52, v50, v35, v22
	v_and_b32_e32 v50, 0x7f800000, v52
	v_cmp_ne_u32_e64 s[0:1], s6, v50
                                        ; implicit-def: $vgpr50
	s_and_saveexec_b64 s[24:25], s[0:1]
	s_xor_b64 s[0:1], exec, s[24:25]
; %bb.136:                              ;   in Loop: Header=BB9_3 Depth=1
	v_bfe_u32 v50, v52, 16, 1
	v_add3_u32 v50, v52, v50, s27
                                        ; implicit-def: $vgpr52
; %bb.137:                              ;   in Loop: Header=BB9_3 Depth=1
	s_andn2_saveexec_b64 s[24:25], s[0:1]
; %bb.138:                              ;   in Loop: Header=BB9_3 Depth=1
	v_or_b32_e32 v50, 0x10000, v52
	v_cmp_eq_u32_sdwa s[0:1], v52, v32 src0_sel:WORD_0 src1_sel:DWORD
	v_cndmask_b32_e64 v50, v50, v52, s[0:1]
; %bb.139:                              ;   in Loop: Header=BB9_3 Depth=1
	s_or_b64 exec, exec, s[24:25]
	v_lshrrev_b32_e32 v53, 4, v51
	;;#ASMSTART
	v_and_or_b32 v52, v51, v33, v34
	;;#ASMEND
	;;#ASMSTART
	v_and_or_b32 v54, v53, v33, v34
	;;#ASMEND
	v_lshrrev_b32_e32 v53, 8, v51
	v_lshrrev_b32_e32 v51, 12, v51
	;;#ASMSTART
	v_and_or_b32 v56, v53, v33, v34
	;;#ASMEND
	;;#ASMSTART
	v_and_or_b32 v58, v51, v33, v34
	;;#ASMEND
	v_lshlrev_b32_e32 v51, 16, v52
	v_add_f32_e32 v53, 0xc3080000, v51
	v_and_b32_e32 v51, 0x7f800000, v53
	v_cmp_ne_u32_e64 s[0:1], s6, v51
                                        ; implicit-def: $vgpr51
	s_and_saveexec_b64 s[24:25], s[0:1]
	s_xor_b64 s[0:1], exec, s[24:25]
; %bb.140:                              ;   in Loop: Header=BB9_3 Depth=1
	v_bfe_u32 v51, v53, 16, 1
	v_add3_u32 v51, v53, v51, s27
                                        ; implicit-def: $vgpr53
; %bb.141:                              ;   in Loop: Header=BB9_3 Depth=1
	s_andn2_saveexec_b64 s[24:25], s[0:1]
; %bb.142:                              ;   in Loop: Header=BB9_3 Depth=1
	v_or_b32_e32 v51, 0x10000, v53
	v_cmp_eq_u32_sdwa s[0:1], v53, v32 src0_sel:WORD_0 src1_sel:DWORD
	v_cndmask_b32_e64 v51, v51, v53, s[0:1]
; %bb.143:                              ;   in Loop: Header=BB9_3 Depth=1
	s_or_b64 exec, exec, s[24:25]
	v_and_b32_e32 v52, 0xffff0000, v52
	v_add_f32_e32 v53, 0xc3080000, v52
	v_and_b32_e32 v52, 0x7f800000, v53
	v_cmp_ne_u32_e64 s[0:1], s6, v52
                                        ; implicit-def: $vgpr52
	s_and_saveexec_b64 s[24:25], s[0:1]
	s_xor_b64 s[0:1], exec, s[24:25]
; %bb.144:                              ;   in Loop: Header=BB9_3 Depth=1
	v_bfe_u32 v52, v53, 16, 1
	v_add3_u32 v52, v53, v52, s27
                                        ; implicit-def: $vgpr53
; %bb.145:                              ;   in Loop: Header=BB9_3 Depth=1
	s_andn2_saveexec_b64 s[24:25], s[0:1]
; %bb.146:                              ;   in Loop: Header=BB9_3 Depth=1
	v_or_b32_e32 v52, 0x10000, v53
	v_cmp_eq_u32_sdwa s[0:1], v53, v32 src0_sel:WORD_0 src1_sel:DWORD
	v_cndmask_b32_e64 v52, v52, v53, s[0:1]
; %bb.147:                              ;   in Loop: Header=BB9_3 Depth=1
	s_or_b64 exec, exec, s[24:25]
	v_lshlrev_b32_e32 v53, 16, v54
	v_add_f32_e32 v55, 0xc3080000, v53
	v_and_b32_e32 v53, 0x7f800000, v55
	v_cmp_ne_u32_e64 s[0:1], s6, v53
                                        ; implicit-def: $vgpr53
	s_and_saveexec_b64 s[24:25], s[0:1]
	s_xor_b64 s[0:1], exec, s[24:25]
; %bb.148:                              ;   in Loop: Header=BB9_3 Depth=1
	v_bfe_u32 v53, v55, 16, 1
	v_add3_u32 v53, v55, v53, s27
                                        ; implicit-def: $vgpr55
; %bb.149:                              ;   in Loop: Header=BB9_3 Depth=1
	s_andn2_saveexec_b64 s[24:25], s[0:1]
; %bb.150:                              ;   in Loop: Header=BB9_3 Depth=1
	v_or_b32_e32 v53, 0x10000, v55
	v_cmp_eq_u32_sdwa s[0:1], v55, v32 src0_sel:WORD_0 src1_sel:DWORD
	v_cndmask_b32_e64 v53, v53, v55, s[0:1]
; %bb.151:                              ;   in Loop: Header=BB9_3 Depth=1
	s_or_b64 exec, exec, s[24:25]
	v_and_b32_e32 v54, 0xffff0000, v54
	v_add_f32_e32 v55, 0xc3080000, v54
	v_and_b32_e32 v54, 0x7f800000, v55
	v_cmp_ne_u32_e64 s[0:1], s6, v54
                                        ; implicit-def: $vgpr54
	s_and_saveexec_b64 s[24:25], s[0:1]
	s_xor_b64 s[0:1], exec, s[24:25]
; %bb.152:                              ;   in Loop: Header=BB9_3 Depth=1
	v_bfe_u32 v54, v55, 16, 1
	v_add3_u32 v54, v55, v54, s27
                                        ; implicit-def: $vgpr55
; %bb.153:                              ;   in Loop: Header=BB9_3 Depth=1
	s_andn2_saveexec_b64 s[24:25], s[0:1]
; %bb.154:                              ;   in Loop: Header=BB9_3 Depth=1
	v_or_b32_e32 v54, 0x10000, v55
	v_cmp_eq_u32_sdwa s[0:1], v55, v32 src0_sel:WORD_0 src1_sel:DWORD
	v_cndmask_b32_e64 v54, v54, v55, s[0:1]
; %bb.155:                              ;   in Loop: Header=BB9_3 Depth=1
	s_or_b64 exec, exec, s[24:25]
	v_lshlrev_b32_e32 v55, 16, v56
	v_add_f32_e32 v57, 0xc3080000, v55
	v_and_b32_e32 v55, 0x7f800000, v57
	v_cmp_ne_u32_e64 s[0:1], s6, v55
                                        ; implicit-def: $vgpr55
	s_and_saveexec_b64 s[24:25], s[0:1]
	s_xor_b64 s[0:1], exec, s[24:25]
; %bb.156:                              ;   in Loop: Header=BB9_3 Depth=1
	v_bfe_u32 v55, v57, 16, 1
	v_add3_u32 v55, v57, v55, s27
                                        ; implicit-def: $vgpr57
; %bb.157:                              ;   in Loop: Header=BB9_3 Depth=1
	s_andn2_saveexec_b64 s[24:25], s[0:1]
; %bb.158:                              ;   in Loop: Header=BB9_3 Depth=1
	v_or_b32_e32 v55, 0x10000, v57
	v_cmp_eq_u32_sdwa s[0:1], v57, v32 src0_sel:WORD_0 src1_sel:DWORD
	v_cndmask_b32_e64 v55, v55, v57, s[0:1]
; %bb.159:                              ;   in Loop: Header=BB9_3 Depth=1
	s_or_b64 exec, exec, s[24:25]
	v_and_b32_e32 v56, 0xffff0000, v56
	v_add_f32_e32 v57, 0xc3080000, v56
	v_and_b32_e32 v56, 0x7f800000, v57
	v_cmp_ne_u32_e64 s[0:1], s6, v56
                                        ; implicit-def: $vgpr56
	s_and_saveexec_b64 s[24:25], s[0:1]
	s_xor_b64 s[0:1], exec, s[24:25]
; %bb.160:                              ;   in Loop: Header=BB9_3 Depth=1
	v_bfe_u32 v56, v57, 16, 1
	v_add3_u32 v56, v57, v56, s27
                                        ; implicit-def: $vgpr57
; %bb.161:                              ;   in Loop: Header=BB9_3 Depth=1
	s_andn2_saveexec_b64 s[24:25], s[0:1]
; %bb.162:                              ;   in Loop: Header=BB9_3 Depth=1
	v_or_b32_e32 v56, 0x10000, v57
	v_cmp_eq_u32_sdwa s[0:1], v57, v32 src0_sel:WORD_0 src1_sel:DWORD
	v_cndmask_b32_e64 v56, v56, v57, s[0:1]
; %bb.163:                              ;   in Loop: Header=BB9_3 Depth=1
	s_or_b64 exec, exec, s[24:25]
	v_lshlrev_b32_e32 v57, 16, v58
	v_add_f32_e32 v59, 0xc3080000, v57
	v_and_b32_e32 v57, 0x7f800000, v59
	v_cmp_ne_u32_e64 s[0:1], s6, v57
                                        ; implicit-def: $vgpr57
	s_and_saveexec_b64 s[24:25], s[0:1]
	s_xor_b64 s[0:1], exec, s[24:25]
; %bb.164:                              ;   in Loop: Header=BB9_3 Depth=1
	v_bfe_u32 v57, v59, 16, 1
	v_add3_u32 v57, v59, v57, s27
                                        ; implicit-def: $vgpr59
; %bb.165:                              ;   in Loop: Header=BB9_3 Depth=1
	s_andn2_saveexec_b64 s[24:25], s[0:1]
; %bb.166:                              ;   in Loop: Header=BB9_3 Depth=1
	v_or_b32_e32 v57, 0x10000, v59
	v_cmp_eq_u32_sdwa s[0:1], v59, v32 src0_sel:WORD_0 src1_sel:DWORD
	v_cndmask_b32_e64 v57, v57, v59, s[0:1]
; %bb.167:                              ;   in Loop: Header=BB9_3 Depth=1
	s_or_b64 exec, exec, s[24:25]
	v_and_b32_e32 v58, 0xffff0000, v58
	v_add_f32_e32 v59, 0xc3080000, v58
	v_and_b32_e32 v58, 0x7f800000, v59
	v_cmp_ne_u32_e64 s[0:1], s6, v58
                                        ; implicit-def: $vgpr58
	s_and_saveexec_b64 s[24:25], s[0:1]
	s_xor_b64 s[0:1], exec, s[24:25]
; %bb.168:                              ;   in Loop: Header=BB9_3 Depth=1
	v_bfe_u32 v58, v59, 16, 1
	v_add3_u32 v58, v59, v58, s27
                                        ; implicit-def: $vgpr59
; %bb.169:                              ;   in Loop: Header=BB9_3 Depth=1
	s_andn2_saveexec_b64 s[24:25], s[0:1]
; %bb.170:                              ;   in Loop: Header=BB9_3 Depth=1
	v_or_b32_e32 v58, 0x10000, v59
	v_cmp_eq_u32_sdwa s[0:1], v59, v32 src0_sel:WORD_0 src1_sel:DWORD
	v_cndmask_b32_e64 v58, v58, v59, s[0:1]
; %bb.171:                              ;   in Loop: Header=BB9_3 Depth=1
	s_or_b64 exec, exec, s[24:25]
	v_and_b32_e32 v51, 0xffff0000, v51
	v_fma_f32 v59, v51, v35, v22
	v_and_b32_e32 v51, 0x7f800000, v59
	v_cmp_ne_u32_e64 s[0:1], s6, v51
                                        ; implicit-def: $vgpr51
	s_and_saveexec_b64 s[24:25], s[0:1]
	s_xor_b64 s[0:1], exec, s[24:25]
; %bb.172:                              ;   in Loop: Header=BB9_3 Depth=1
	v_bfe_u32 v51, v59, 16, 1
	v_add3_u32 v51, v59, v51, s27
                                        ; implicit-def: $vgpr59
; %bb.173:                              ;   in Loop: Header=BB9_3 Depth=1
	s_andn2_saveexec_b64 s[24:25], s[0:1]
; %bb.174:                              ;   in Loop: Header=BB9_3 Depth=1
	v_or_b32_e32 v51, 0x10000, v59
	v_cmp_eq_u32_sdwa s[0:1], v59, v32 src0_sel:WORD_0 src1_sel:DWORD
	v_cndmask_b32_e64 v51, v51, v59, s[0:1]
; %bb.175:                              ;   in Loop: Header=BB9_3 Depth=1
	s_or_b64 exec, exec, s[24:25]
	v_and_b32_e32 v52, 0xffff0000, v52
	v_fma_f32 v59, v52, v35, v22
	v_and_b32_e32 v52, 0x7f800000, v59
	v_cmp_ne_u32_e64 s[0:1], s6, v52
                                        ; implicit-def: $vgpr52
	s_and_saveexec_b64 s[24:25], s[0:1]
	s_xor_b64 s[0:1], exec, s[24:25]
; %bb.176:                              ;   in Loop: Header=BB9_3 Depth=1
	v_bfe_u32 v52, v59, 16, 1
	v_add3_u32 v52, v59, v52, s27
                                        ; implicit-def: $vgpr59
; %bb.177:                              ;   in Loop: Header=BB9_3 Depth=1
	s_andn2_saveexec_b64 s[24:25], s[0:1]
; %bb.178:                              ;   in Loop: Header=BB9_3 Depth=1
	v_or_b32_e32 v52, 0x10000, v59
	v_cmp_eq_u32_sdwa s[0:1], v59, v32 src0_sel:WORD_0 src1_sel:DWORD
	v_cndmask_b32_e64 v52, v52, v59, s[0:1]
; %bb.179:                              ;   in Loop: Header=BB9_3 Depth=1
	s_or_b64 exec, exec, s[24:25]
	v_and_b32_e32 v53, 0xffff0000, v53
	v_fma_f32 v59, v53, v35, v22
	v_and_b32_e32 v53, 0x7f800000, v59
	v_cmp_ne_u32_e64 s[0:1], s6, v53
                                        ; implicit-def: $vgpr53
	s_and_saveexec_b64 s[24:25], s[0:1]
	s_xor_b64 s[0:1], exec, s[24:25]
; %bb.180:                              ;   in Loop: Header=BB9_3 Depth=1
	v_bfe_u32 v53, v59, 16, 1
	v_add3_u32 v53, v59, v53, s27
                                        ; implicit-def: $vgpr59
; %bb.181:                              ;   in Loop: Header=BB9_3 Depth=1
	s_andn2_saveexec_b64 s[24:25], s[0:1]
; %bb.182:                              ;   in Loop: Header=BB9_3 Depth=1
	v_or_b32_e32 v53, 0x10000, v59
	v_cmp_eq_u32_sdwa s[0:1], v59, v32 src0_sel:WORD_0 src1_sel:DWORD
	v_cndmask_b32_e64 v53, v53, v59, s[0:1]
; %bb.183:                              ;   in Loop: Header=BB9_3 Depth=1
	s_or_b64 exec, exec, s[24:25]
	v_and_b32_e32 v54, 0xffff0000, v54
	v_fma_f32 v59, v54, v35, v22
	v_and_b32_e32 v54, 0x7f800000, v59
	v_cmp_ne_u32_e64 s[0:1], s6, v54
                                        ; implicit-def: $vgpr54
	s_and_saveexec_b64 s[24:25], s[0:1]
	s_xor_b64 s[0:1], exec, s[24:25]
; %bb.184:                              ;   in Loop: Header=BB9_3 Depth=1
	v_bfe_u32 v54, v59, 16, 1
	v_add3_u32 v54, v59, v54, s27
                                        ; implicit-def: $vgpr59
; %bb.185:                              ;   in Loop: Header=BB9_3 Depth=1
	s_andn2_saveexec_b64 s[24:25], s[0:1]
; %bb.186:                              ;   in Loop: Header=BB9_3 Depth=1
	v_or_b32_e32 v54, 0x10000, v59
	v_cmp_eq_u32_sdwa s[0:1], v59, v32 src0_sel:WORD_0 src1_sel:DWORD
	v_cndmask_b32_e64 v54, v54, v59, s[0:1]
; %bb.187:                              ;   in Loop: Header=BB9_3 Depth=1
	s_or_b64 exec, exec, s[24:25]
	v_and_b32_e32 v55, 0xffff0000, v55
	v_fma_f32 v59, v55, v35, v22
	v_and_b32_e32 v55, 0x7f800000, v59
	v_cmp_ne_u32_e64 s[0:1], s6, v55
                                        ; implicit-def: $vgpr55
	s_and_saveexec_b64 s[24:25], s[0:1]
	s_xor_b64 s[0:1], exec, s[24:25]
; %bb.188:                              ;   in Loop: Header=BB9_3 Depth=1
	v_bfe_u32 v55, v59, 16, 1
	v_add3_u32 v55, v59, v55, s27
                                        ; implicit-def: $vgpr59
; %bb.189:                              ;   in Loop: Header=BB9_3 Depth=1
	s_andn2_saveexec_b64 s[24:25], s[0:1]
; %bb.190:                              ;   in Loop: Header=BB9_3 Depth=1
	v_or_b32_e32 v55, 0x10000, v59
	v_cmp_eq_u32_sdwa s[0:1], v59, v32 src0_sel:WORD_0 src1_sel:DWORD
	v_cndmask_b32_e64 v55, v55, v59, s[0:1]
; %bb.191:                              ;   in Loop: Header=BB9_3 Depth=1
	s_or_b64 exec, exec, s[24:25]
	v_and_b32_e32 v56, 0xffff0000, v56
	v_fma_f32 v59, v56, v35, v22
	v_and_b32_e32 v56, 0x7f800000, v59
	v_cmp_ne_u32_e64 s[0:1], s6, v56
                                        ; implicit-def: $vgpr56
	s_and_saveexec_b64 s[24:25], s[0:1]
	s_xor_b64 s[0:1], exec, s[24:25]
; %bb.192:                              ;   in Loop: Header=BB9_3 Depth=1
	v_bfe_u32 v56, v59, 16, 1
	v_add3_u32 v56, v59, v56, s27
                                        ; implicit-def: $vgpr59
; %bb.193:                              ;   in Loop: Header=BB9_3 Depth=1
	s_andn2_saveexec_b64 s[24:25], s[0:1]
; %bb.194:                              ;   in Loop: Header=BB9_3 Depth=1
	v_or_b32_e32 v56, 0x10000, v59
	v_cmp_eq_u32_sdwa s[0:1], v59, v32 src0_sel:WORD_0 src1_sel:DWORD
	v_cndmask_b32_e64 v56, v56, v59, s[0:1]
; %bb.195:                              ;   in Loop: Header=BB9_3 Depth=1
	s_or_b64 exec, exec, s[24:25]
	v_and_b32_e32 v57, 0xffff0000, v57
	v_fma_f32 v59, v57, v35, v22
	v_and_b32_e32 v57, 0x7f800000, v59
	v_cmp_ne_u32_e64 s[0:1], s6, v57
                                        ; implicit-def: $vgpr57
	s_and_saveexec_b64 s[24:25], s[0:1]
	s_xor_b64 s[0:1], exec, s[24:25]
; %bb.196:                              ;   in Loop: Header=BB9_3 Depth=1
	v_bfe_u32 v57, v59, 16, 1
	v_add3_u32 v57, v59, v57, s27
                                        ; implicit-def: $vgpr59
; %bb.197:                              ;   in Loop: Header=BB9_3 Depth=1
	s_andn2_saveexec_b64 s[24:25], s[0:1]
; %bb.198:                              ;   in Loop: Header=BB9_3 Depth=1
	v_or_b32_e32 v57, 0x10000, v59
	v_cmp_eq_u32_sdwa s[0:1], v59, v32 src0_sel:WORD_0 src1_sel:DWORD
	v_cndmask_b32_e64 v57, v57, v59, s[0:1]
; %bb.199:                              ;   in Loop: Header=BB9_3 Depth=1
	s_or_b64 exec, exec, s[24:25]
	v_and_b32_e32 v58, 0xffff0000, v58
	v_fma_f32 v59, v58, v35, v22
	v_and_b32_e32 v58, 0x7f800000, v59
	v_cmp_ne_u32_e64 s[0:1], s6, v58
                                        ; implicit-def: $vgpr58
	s_and_saveexec_b64 s[24:25], s[0:1]
	s_xor_b64 s[0:1], exec, s[24:25]
; %bb.200:                              ;   in Loop: Header=BB9_3 Depth=1
	v_bfe_u32 v58, v59, 16, 1
	v_add3_u32 v58, v59, v58, s27
                                        ; implicit-def: $vgpr59
; %bb.201:                              ;   in Loop: Header=BB9_3 Depth=1
	s_andn2_saveexec_b64 s[24:25], s[0:1]
; %bb.202:                              ;   in Loop: Header=BB9_3 Depth=1
	v_or_b32_e32 v58, 0x10000, v59
	v_cmp_eq_u32_sdwa s[0:1], v59, v32 src0_sel:WORD_0 src1_sel:DWORD
	v_cndmask_b32_e64 v58, v58, v59, s[0:1]
; %bb.203:                              ;   in Loop: Header=BB9_3 Depth=1
	s_or_b64 exec, exec, s[24:25]
	v_lshrrev_b32_e32 v60, 4, v42
	;;#ASMSTART
	v_and_or_b32 v59, v42, v33, v34
	;;#ASMEND
	;;#ASMSTART
	v_and_or_b32 v61, v60, v33, v34
	;;#ASMEND
	v_lshrrev_b32_e32 v60, 8, v42
	v_lshrrev_b32_e32 v42, 12, v42
	;;#ASMSTART
	v_and_or_b32 v63, v60, v33, v34
	;;#ASMEND
	;;#ASMSTART
	v_and_or_b32 v65, v42, v33, v34
	;;#ASMEND
	v_lshlrev_b32_e32 v42, 16, v59
	v_add_f32_e32 v60, 0xc3080000, v42
	v_and_b32_e32 v42, 0x7f800000, v60
	v_cmp_ne_u32_e64 s[0:1], s6, v42
                                        ; implicit-def: $vgpr42
	s_and_saveexec_b64 s[24:25], s[0:1]
	s_xor_b64 s[0:1], exec, s[24:25]
; %bb.204:                              ;   in Loop: Header=BB9_3 Depth=1
	v_bfe_u32 v42, v60, 16, 1
	v_add3_u32 v42, v60, v42, s27
                                        ; implicit-def: $vgpr60
; %bb.205:                              ;   in Loop: Header=BB9_3 Depth=1
	s_andn2_saveexec_b64 s[24:25], s[0:1]
; %bb.206:                              ;   in Loop: Header=BB9_3 Depth=1
	v_or_b32_e32 v42, 0x10000, v60
	v_cmp_eq_u32_sdwa s[0:1], v60, v32 src0_sel:WORD_0 src1_sel:DWORD
	v_cndmask_b32_e64 v42, v42, v60, s[0:1]
; %bb.207:                              ;   in Loop: Header=BB9_3 Depth=1
	s_or_b64 exec, exec, s[24:25]
	v_and_b32_e32 v59, 0xffff0000, v59
	v_add_f32_e32 v60, 0xc3080000, v59
	v_and_b32_e32 v59, 0x7f800000, v60
	v_cmp_ne_u32_e64 s[0:1], s6, v59
                                        ; implicit-def: $vgpr59
	s_and_saveexec_b64 s[24:25], s[0:1]
	s_xor_b64 s[0:1], exec, s[24:25]
; %bb.208:                              ;   in Loop: Header=BB9_3 Depth=1
	v_bfe_u32 v59, v60, 16, 1
	v_add3_u32 v59, v60, v59, s27
                                        ; implicit-def: $vgpr60
; %bb.209:                              ;   in Loop: Header=BB9_3 Depth=1
	s_andn2_saveexec_b64 s[24:25], s[0:1]
; %bb.210:                              ;   in Loop: Header=BB9_3 Depth=1
	v_or_b32_e32 v59, 0x10000, v60
	v_cmp_eq_u32_sdwa s[0:1], v60, v32 src0_sel:WORD_0 src1_sel:DWORD
	v_cndmask_b32_e64 v59, v59, v60, s[0:1]
; %bb.211:                              ;   in Loop: Header=BB9_3 Depth=1
	s_or_b64 exec, exec, s[24:25]
	v_lshlrev_b32_e32 v60, 16, v61
	v_add_f32_e32 v62, 0xc3080000, v60
	v_and_b32_e32 v60, 0x7f800000, v62
	v_cmp_ne_u32_e64 s[0:1], s6, v60
                                        ; implicit-def: $vgpr60
	s_and_saveexec_b64 s[24:25], s[0:1]
	s_xor_b64 s[0:1], exec, s[24:25]
; %bb.212:                              ;   in Loop: Header=BB9_3 Depth=1
	v_bfe_u32 v60, v62, 16, 1
	v_add3_u32 v60, v62, v60, s27
                                        ; implicit-def: $vgpr62
; %bb.213:                              ;   in Loop: Header=BB9_3 Depth=1
	s_andn2_saveexec_b64 s[24:25], s[0:1]
; %bb.214:                              ;   in Loop: Header=BB9_3 Depth=1
	v_or_b32_e32 v60, 0x10000, v62
	v_cmp_eq_u32_sdwa s[0:1], v62, v32 src0_sel:WORD_0 src1_sel:DWORD
	v_cndmask_b32_e64 v60, v60, v62, s[0:1]
; %bb.215:                              ;   in Loop: Header=BB9_3 Depth=1
	s_or_b64 exec, exec, s[24:25]
	v_and_b32_e32 v61, 0xffff0000, v61
	v_add_f32_e32 v62, 0xc3080000, v61
	v_and_b32_e32 v61, 0x7f800000, v62
	v_cmp_ne_u32_e64 s[0:1], s6, v61
                                        ; implicit-def: $vgpr61
	s_and_saveexec_b64 s[24:25], s[0:1]
	s_xor_b64 s[0:1], exec, s[24:25]
; %bb.216:                              ;   in Loop: Header=BB9_3 Depth=1
	v_bfe_u32 v61, v62, 16, 1
	v_add3_u32 v61, v62, v61, s27
                                        ; implicit-def: $vgpr62
; %bb.217:                              ;   in Loop: Header=BB9_3 Depth=1
	s_andn2_saveexec_b64 s[24:25], s[0:1]
; %bb.218:                              ;   in Loop: Header=BB9_3 Depth=1
	v_or_b32_e32 v61, 0x10000, v62
	v_cmp_eq_u32_sdwa s[0:1], v62, v32 src0_sel:WORD_0 src1_sel:DWORD
	v_cndmask_b32_e64 v61, v61, v62, s[0:1]
; %bb.219:                              ;   in Loop: Header=BB9_3 Depth=1
	s_or_b64 exec, exec, s[24:25]
	v_lshlrev_b32_e32 v62, 16, v63
	v_add_f32_e32 v64, 0xc3080000, v62
	v_and_b32_e32 v62, 0x7f800000, v64
	v_cmp_ne_u32_e64 s[0:1], s6, v62
                                        ; implicit-def: $vgpr62
	s_and_saveexec_b64 s[24:25], s[0:1]
	s_xor_b64 s[0:1], exec, s[24:25]
; %bb.220:                              ;   in Loop: Header=BB9_3 Depth=1
	v_bfe_u32 v62, v64, 16, 1
	v_add3_u32 v62, v64, v62, s27
                                        ; implicit-def: $vgpr64
; %bb.221:                              ;   in Loop: Header=BB9_3 Depth=1
	s_andn2_saveexec_b64 s[24:25], s[0:1]
; %bb.222:                              ;   in Loop: Header=BB9_3 Depth=1
	v_or_b32_e32 v62, 0x10000, v64
	v_cmp_eq_u32_sdwa s[0:1], v64, v32 src0_sel:WORD_0 src1_sel:DWORD
	v_cndmask_b32_e64 v62, v62, v64, s[0:1]
; %bb.223:                              ;   in Loop: Header=BB9_3 Depth=1
	s_or_b64 exec, exec, s[24:25]
	v_and_b32_e32 v63, 0xffff0000, v63
	v_add_f32_e32 v64, 0xc3080000, v63
	v_and_b32_e32 v63, 0x7f800000, v64
	v_cmp_ne_u32_e64 s[0:1], s6, v63
                                        ; implicit-def: $vgpr63
	s_and_saveexec_b64 s[24:25], s[0:1]
	s_xor_b64 s[0:1], exec, s[24:25]
; %bb.224:                              ;   in Loop: Header=BB9_3 Depth=1
	v_bfe_u32 v63, v64, 16, 1
	v_add3_u32 v63, v64, v63, s27
                                        ; implicit-def: $vgpr64
; %bb.225:                              ;   in Loop: Header=BB9_3 Depth=1
	s_andn2_saveexec_b64 s[24:25], s[0:1]
; %bb.226:                              ;   in Loop: Header=BB9_3 Depth=1
	v_or_b32_e32 v63, 0x10000, v64
	v_cmp_eq_u32_sdwa s[0:1], v64, v32 src0_sel:WORD_0 src1_sel:DWORD
	v_cndmask_b32_e64 v63, v63, v64, s[0:1]
; %bb.227:                              ;   in Loop: Header=BB9_3 Depth=1
	s_or_b64 exec, exec, s[24:25]
	v_lshlrev_b32_e32 v64, 16, v65
	v_add_f32_e32 v66, 0xc3080000, v64
	v_and_b32_e32 v64, 0x7f800000, v66
	v_cmp_ne_u32_e64 s[0:1], s6, v64
                                        ; implicit-def: $vgpr64
	s_and_saveexec_b64 s[24:25], s[0:1]
	s_xor_b64 s[0:1], exec, s[24:25]
; %bb.228:                              ;   in Loop: Header=BB9_3 Depth=1
	v_bfe_u32 v64, v66, 16, 1
	v_add3_u32 v64, v66, v64, s27
                                        ; implicit-def: $vgpr66
; %bb.229:                              ;   in Loop: Header=BB9_3 Depth=1
	s_andn2_saveexec_b64 s[24:25], s[0:1]
; %bb.230:                              ;   in Loop: Header=BB9_3 Depth=1
	v_or_b32_e32 v64, 0x10000, v66
	v_cmp_eq_u32_sdwa s[0:1], v66, v32 src0_sel:WORD_0 src1_sel:DWORD
	v_cndmask_b32_e64 v64, v64, v66, s[0:1]
; %bb.231:                              ;   in Loop: Header=BB9_3 Depth=1
	s_or_b64 exec, exec, s[24:25]
	v_and_b32_e32 v65, 0xffff0000, v65
	v_add_f32_e32 v66, 0xc3080000, v65
	v_and_b32_e32 v65, 0x7f800000, v66
	v_cmp_ne_u32_e64 s[0:1], s6, v65
                                        ; implicit-def: $vgpr65
	s_and_saveexec_b64 s[24:25], s[0:1]
	s_xor_b64 s[0:1], exec, s[24:25]
; %bb.232:                              ;   in Loop: Header=BB9_3 Depth=1
	v_bfe_u32 v65, v66, 16, 1
	v_add3_u32 v65, v66, v65, s27
                                        ; implicit-def: $vgpr66
; %bb.233:                              ;   in Loop: Header=BB9_3 Depth=1
	s_andn2_saveexec_b64 s[24:25], s[0:1]
; %bb.234:                              ;   in Loop: Header=BB9_3 Depth=1
	v_or_b32_e32 v65, 0x10000, v66
	v_cmp_eq_u32_sdwa s[0:1], v66, v32 src0_sel:WORD_0 src1_sel:DWORD
	v_cndmask_b32_e64 v65, v65, v66, s[0:1]
; %bb.235:                              ;   in Loop: Header=BB9_3 Depth=1
	s_or_b64 exec, exec, s[24:25]
	v_and_b32_e32 v42, 0xffff0000, v42
	v_fma_f32 v66, v42, v35, v22
	v_and_b32_e32 v42, 0x7f800000, v66
	v_cmp_ne_u32_e64 s[0:1], s6, v42
                                        ; implicit-def: $vgpr42
	s_and_saveexec_b64 s[24:25], s[0:1]
	s_xor_b64 s[0:1], exec, s[24:25]
; %bb.236:                              ;   in Loop: Header=BB9_3 Depth=1
	v_bfe_u32 v42, v66, 16, 1
	v_add3_u32 v42, v66, v42, s27
                                        ; implicit-def: $vgpr66
; %bb.237:                              ;   in Loop: Header=BB9_3 Depth=1
	s_andn2_saveexec_b64 s[24:25], s[0:1]
; %bb.238:                              ;   in Loop: Header=BB9_3 Depth=1
	v_or_b32_e32 v42, 0x10000, v66
	v_cmp_eq_u32_sdwa s[0:1], v66, v32 src0_sel:WORD_0 src1_sel:DWORD
	v_cndmask_b32_e64 v42, v42, v66, s[0:1]
; %bb.239:                              ;   in Loop: Header=BB9_3 Depth=1
	s_or_b64 exec, exec, s[24:25]
	v_and_b32_e32 v59, 0xffff0000, v59
	v_fma_f32 v66, v59, v35, v22
	v_and_b32_e32 v59, 0x7f800000, v66
	v_cmp_ne_u32_e64 s[0:1], s6, v59
                                        ; implicit-def: $vgpr59
	s_and_saveexec_b64 s[24:25], s[0:1]
	s_xor_b64 s[0:1], exec, s[24:25]
; %bb.240:                              ;   in Loop: Header=BB9_3 Depth=1
	v_bfe_u32 v59, v66, 16, 1
	v_add3_u32 v59, v66, v59, s27
                                        ; implicit-def: $vgpr66
; %bb.241:                              ;   in Loop: Header=BB9_3 Depth=1
	s_andn2_saveexec_b64 s[24:25], s[0:1]
; %bb.242:                              ;   in Loop: Header=BB9_3 Depth=1
	v_or_b32_e32 v59, 0x10000, v66
	v_cmp_eq_u32_sdwa s[0:1], v66, v32 src0_sel:WORD_0 src1_sel:DWORD
	v_cndmask_b32_e64 v59, v59, v66, s[0:1]
; %bb.243:                              ;   in Loop: Header=BB9_3 Depth=1
	s_or_b64 exec, exec, s[24:25]
	v_and_b32_e32 v60, 0xffff0000, v60
	v_fma_f32 v66, v60, v35, v22
	v_and_b32_e32 v60, 0x7f800000, v66
	v_cmp_ne_u32_e64 s[0:1], s6, v60
                                        ; implicit-def: $vgpr60
	s_and_saveexec_b64 s[24:25], s[0:1]
	s_xor_b64 s[0:1], exec, s[24:25]
; %bb.244:                              ;   in Loop: Header=BB9_3 Depth=1
	v_bfe_u32 v60, v66, 16, 1
	v_add3_u32 v60, v66, v60, s27
                                        ; implicit-def: $vgpr66
; %bb.245:                              ;   in Loop: Header=BB9_3 Depth=1
	s_andn2_saveexec_b64 s[24:25], s[0:1]
; %bb.246:                              ;   in Loop: Header=BB9_3 Depth=1
	v_or_b32_e32 v60, 0x10000, v66
	v_cmp_eq_u32_sdwa s[0:1], v66, v32 src0_sel:WORD_0 src1_sel:DWORD
	v_cndmask_b32_e64 v60, v60, v66, s[0:1]
; %bb.247:                              ;   in Loop: Header=BB9_3 Depth=1
	s_or_b64 exec, exec, s[24:25]
	v_and_b32_e32 v61, 0xffff0000, v61
	v_fma_f32 v66, v61, v35, v22
	v_and_b32_e32 v61, 0x7f800000, v66
	v_cmp_ne_u32_e64 s[0:1], s6, v61
                                        ; implicit-def: $vgpr61
	s_and_saveexec_b64 s[24:25], s[0:1]
	s_xor_b64 s[0:1], exec, s[24:25]
; %bb.248:                              ;   in Loop: Header=BB9_3 Depth=1
	v_bfe_u32 v61, v66, 16, 1
	v_add3_u32 v61, v66, v61, s27
                                        ; implicit-def: $vgpr66
; %bb.249:                              ;   in Loop: Header=BB9_3 Depth=1
	s_andn2_saveexec_b64 s[24:25], s[0:1]
; %bb.250:                              ;   in Loop: Header=BB9_3 Depth=1
	v_or_b32_e32 v61, 0x10000, v66
	v_cmp_eq_u32_sdwa s[0:1], v66, v32 src0_sel:WORD_0 src1_sel:DWORD
	v_cndmask_b32_e64 v61, v61, v66, s[0:1]
; %bb.251:                              ;   in Loop: Header=BB9_3 Depth=1
	s_or_b64 exec, exec, s[24:25]
	v_and_b32_e32 v62, 0xffff0000, v62
	v_fma_f32 v66, v62, v35, v22
	v_and_b32_e32 v62, 0x7f800000, v66
	v_cmp_ne_u32_e64 s[0:1], s6, v62
                                        ; implicit-def: $vgpr62
	s_and_saveexec_b64 s[24:25], s[0:1]
	s_xor_b64 s[0:1], exec, s[24:25]
; %bb.252:                              ;   in Loop: Header=BB9_3 Depth=1
	v_bfe_u32 v62, v66, 16, 1
	v_add3_u32 v62, v66, v62, s27
                                        ; implicit-def: $vgpr66
; %bb.253:                              ;   in Loop: Header=BB9_3 Depth=1
	s_andn2_saveexec_b64 s[24:25], s[0:1]
; %bb.254:                              ;   in Loop: Header=BB9_3 Depth=1
	v_or_b32_e32 v62, 0x10000, v66
	v_cmp_eq_u32_sdwa s[0:1], v66, v32 src0_sel:WORD_0 src1_sel:DWORD
	v_cndmask_b32_e64 v62, v62, v66, s[0:1]
; %bb.255:                              ;   in Loop: Header=BB9_3 Depth=1
	s_or_b64 exec, exec, s[24:25]
	v_and_b32_e32 v63, 0xffff0000, v63
	v_fma_f32 v66, v63, v35, v22
	v_and_b32_e32 v63, 0x7f800000, v66
	v_cmp_ne_u32_e64 s[0:1], s6, v63
                                        ; implicit-def: $vgpr63
	s_and_saveexec_b64 s[24:25], s[0:1]
	s_xor_b64 s[0:1], exec, s[24:25]
; %bb.256:                              ;   in Loop: Header=BB9_3 Depth=1
	v_bfe_u32 v63, v66, 16, 1
	v_add3_u32 v63, v66, v63, s27
                                        ; implicit-def: $vgpr66
; %bb.257:                              ;   in Loop: Header=BB9_3 Depth=1
	s_andn2_saveexec_b64 s[24:25], s[0:1]
; %bb.258:                              ;   in Loop: Header=BB9_3 Depth=1
	v_or_b32_e32 v63, 0x10000, v66
	v_cmp_eq_u32_sdwa s[0:1], v66, v32 src0_sel:WORD_0 src1_sel:DWORD
	v_cndmask_b32_e64 v63, v63, v66, s[0:1]
; %bb.259:                              ;   in Loop: Header=BB9_3 Depth=1
	s_or_b64 exec, exec, s[24:25]
	v_and_b32_e32 v64, 0xffff0000, v64
	v_fma_f32 v66, v64, v35, v22
	v_and_b32_e32 v64, 0x7f800000, v66
	v_cmp_ne_u32_e64 s[0:1], s6, v64
                                        ; implicit-def: $vgpr64
	s_and_saveexec_b64 s[24:25], s[0:1]
	s_xor_b64 s[0:1], exec, s[24:25]
; %bb.260:                              ;   in Loop: Header=BB9_3 Depth=1
	v_bfe_u32 v64, v66, 16, 1
	v_add3_u32 v64, v66, v64, s27
                                        ; implicit-def: $vgpr66
; %bb.261:                              ;   in Loop: Header=BB9_3 Depth=1
	s_andn2_saveexec_b64 s[24:25], s[0:1]
; %bb.262:                              ;   in Loop: Header=BB9_3 Depth=1
	v_or_b32_e32 v64, 0x10000, v66
	v_cmp_eq_u32_sdwa s[0:1], v66, v32 src0_sel:WORD_0 src1_sel:DWORD
	v_cndmask_b32_e64 v64, v64, v66, s[0:1]
; %bb.263:                              ;   in Loop: Header=BB9_3 Depth=1
	s_or_b64 exec, exec, s[24:25]
	v_and_b32_e32 v65, 0xffff0000, v65
	v_fmac_f32_e32 v22, v65, v35
	v_and_b32_e32 v35, 0x7f800000, v22
	v_cmp_ne_u32_e64 s[0:1], s6, v35
                                        ; implicit-def: $vgpr35
	s_and_saveexec_b64 s[24:25], s[0:1]
	s_xor_b64 s[0:1], exec, s[24:25]
; %bb.264:                              ;   in Loop: Header=BB9_3 Depth=1
	v_bfe_u32 v35, v22, 16, 1
	v_add3_u32 v35, v22, v35, s27
                                        ; implicit-def: $vgpr22
; %bb.265:                              ;   in Loop: Header=BB9_3 Depth=1
	s_andn2_saveexec_b64 s[24:25], s[0:1]
	s_cbranch_execz .LBB9_2
; %bb.266:                              ;   in Loop: Header=BB9_3 Depth=1
	v_or_b32_e32 v35, 0x10000, v22
	v_cmp_eq_u32_sdwa s[0:1], v22, v32 src0_sel:WORD_0 src1_sel:DWORD
	v_cndmask_b32_e64 v35, v35, v22, s[0:1]
	s_branch .LBB9_2
.LBB9_267:
	s_or_b64 exec, exec, s[10:11]
.LBB9_268:
	s_or_b64 exec, exec, s[4:5]
	v_lshl_add_u32 v8, v24, 1, s9
	v_cmp_gt_u32_e32 vcc, s3, v8
	s_and_saveexec_b64 s[0:1], vcc
	s_cbranch_execz .LBB9_336
; %bb.269:
	v_lshl_or_b32 v9, s8, 4, v25
	v_cmp_gt_i32_e32 vcc, s16, v9
	v_mov_b32_e32 v6, 0
	v_mov_b32_e32 v7, 0
	;; [unrolled: 1-line block ×4, first 2 shown]
	s_and_saveexec_b64 s[4:5], vcc
	s_cbranch_execz .LBB9_271
; %bb.270:
	v_mul_lo_u32 v4, v9, s18
	v_ashrrev_i32_e32 v5, 31, v4
	v_lshlrev_b64 v[4:5], 1, v[4:5]
	v_add_co_u32_e32 v7, vcc, s20, v4
	v_and_b32_e32 v4, 0xfc, v27
	v_mov_b32_e32 v6, s21
	v_lshl_add_u32 v4, v8, 4, v4
	v_addc_co_u32_e32 v6, vcc, v6, v5, vcc
	v_ashrrev_i32_e32 v5, 31, v4
	v_lshlrev_b64 v[4:5], 1, v[4:5]
	v_add_co_u32_e32 v10, vcc, v7, v4
	v_addc_co_u32_e32 v11, vcc, v6, v5, vcc
	global_load_dwordx2 v[6:7], v[10:11], off
	global_load_dwordx2 v[4:5], v[10:11], off offset:32
.LBB9_271:
	s_or_b64 exec, exec, s[4:5]
	s_lshr_b32 s4, s3, 31
	s_add_i32 s3, s3, s4
	s_lshr_b32 s3, s3, 1
	s_mul_i32 s3, s3, s7
	v_lshrrev_b32_e32 v9, 1, v8
	v_add_u32_e32 v9, s3, v9
	v_lshl_add_u32 v10, v9, 6, v26
	v_ashrrev_i32_e32 v11, 31, v10
	v_lshlrev_b64 v[10:11], 2, v[10:11]
	v_mov_b32_e32 v9, s23
	v_add_co_u32_e32 v10, vcc, s22, v10
	v_addc_co_u32_e32 v11, vcc, v9, v11, vcc
	global_load_dword v11, v[10:11], off
	v_ashrrev_i32_e32 v10, 31, v8
	v_lshrrev_b32_e32 v10, 28, v10
	v_add_u32_e32 v8, v8, v10
	v_lshrrev_b32_e32 v8, 4, v8
	v_mul_lo_u32 v8, s2, v8
	v_lshl_or_b32 v9, s7, 4, v25
	v_lshlrev_b32_e32 v8, 4, v8
	v_add_lshl_u32 v8, v9, v8, 1
	v_ashrrev_i32_e32 v9, 31, v8
	v_lshlrev_b64 v[8:9], 1, v[8:9]
	v_mov_b32_e32 v10, s13
	v_add_co_u32_e32 v8, vcc, s12, v8
	v_addc_co_u32_e32 v9, vcc, v10, v9, vcc
	global_load_dword v8, v[8:9], off
	v_mov_b32_e32 v9, 0xf000f
	v_mov_b32_e32 v13, 0x43004300
	s_waitcnt vmcnt(1)
	;;#ASMSTART
	v_and_or_b32 v10, v11, v9, v13
	;;#ASMEND
	s_mov_b32 s2, 0x7f800000
	v_lshrrev_b32_e32 v12, 4, v11
	v_lshrrev_b32_e32 v14, 8, v11
	v_lshrrev_b32_e32 v11, 12, v11
	;;#ASMSTART
	v_and_or_b32 v12, v12, v9, v13
	;;#ASMEND
	;;#ASMSTART
	v_and_or_b32 v14, v14, v9, v13
	;;#ASMEND
	;; [unrolled: 3-line block ×3, first 2 shown]
	v_lshlrev_b32_e32 v9, 16, v10
	v_add_f32_e32 v11, 0xc3080000, v9
	v_and_b32_e32 v9, 0x7f800000, v11
	v_cmp_ne_u32_e32 vcc, s2, v9
                                        ; implicit-def: $vgpr9
	s_and_saveexec_b64 s[2:3], vcc
	s_xor_b64 s[2:3], exec, s[2:3]
; %bb.272:
	v_bfe_u32 v9, v11, 16, 1
	s_movk_i32 s4, 0x7fff
	v_add3_u32 v9, v11, v9, s4
                                        ; implicit-def: $vgpr11
; %bb.273:
	s_andn2_saveexec_b64 s[2:3], s[2:3]
; %bb.274:
	v_mov_b32_e32 v9, 0
	v_or_b32_e32 v13, 0x10000, v11
	v_cmp_eq_u32_sdwa vcc, v11, v9 src0_sel:WORD_0 src1_sel:DWORD
	v_cndmask_b32_e32 v9, v13, v11, vcc
; %bb.275:
	s_or_b64 exec, exec, s[2:3]
	v_and_b32_e32 v10, 0xffff0000, v10
	v_add_f32_e32 v11, 0xc3080000, v10
	s_mov_b32 s2, 0x7f800000
	v_and_b32_e32 v10, 0x7f800000, v11
	v_cmp_ne_u32_e32 vcc, s2, v10
                                        ; implicit-def: $vgpr10
	s_and_saveexec_b64 s[2:3], vcc
	s_xor_b64 s[2:3], exec, s[2:3]
; %bb.276:
	v_bfe_u32 v10, v11, 16, 1
	s_movk_i32 s4, 0x7fff
	v_add3_u32 v10, v11, v10, s4
                                        ; implicit-def: $vgpr11
; %bb.277:
	s_andn2_saveexec_b64 s[2:3], s[2:3]
; %bb.278:
	v_mov_b32_e32 v10, 0
	v_or_b32_e32 v13, 0x10000, v11
	v_cmp_eq_u32_sdwa vcc, v11, v10 src0_sel:WORD_0 src1_sel:DWORD
	v_cndmask_b32_e32 v10, v13, v11, vcc
; %bb.279:
	s_or_b64 exec, exec, s[2:3]
	v_lshlrev_b32_e32 v11, 16, v12
	v_add_f32_e32 v13, 0xc3080000, v11
	s_mov_b32 s2, 0x7f800000
	v_and_b32_e32 v11, 0x7f800000, v13
	v_cmp_ne_u32_e32 vcc, s2, v11
                                        ; implicit-def: $vgpr11
	s_and_saveexec_b64 s[2:3], vcc
	s_xor_b64 s[2:3], exec, s[2:3]
; %bb.280:
	v_bfe_u32 v11, v13, 16, 1
	s_movk_i32 s4, 0x7fff
	v_add3_u32 v11, v13, v11, s4
                                        ; implicit-def: $vgpr13
; %bb.281:
	s_andn2_saveexec_b64 s[2:3], s[2:3]
; %bb.282:
	v_mov_b32_e32 v11, 0
	v_or_b32_e32 v15, 0x10000, v13
	v_cmp_eq_u32_sdwa vcc, v13, v11 src0_sel:WORD_0 src1_sel:DWORD
	v_cndmask_b32_e32 v11, v15, v13, vcc
; %bb.283:
	s_or_b64 exec, exec, s[2:3]
	v_and_b32_e32 v12, 0xffff0000, v12
	v_add_f32_e32 v13, 0xc3080000, v12
	s_mov_b32 s2, 0x7f800000
	v_and_b32_e32 v12, 0x7f800000, v13
	v_cmp_ne_u32_e32 vcc, s2, v12
                                        ; implicit-def: $vgpr12
	s_and_saveexec_b64 s[2:3], vcc
	s_xor_b64 s[2:3], exec, s[2:3]
; %bb.284:
	v_bfe_u32 v12, v13, 16, 1
	s_movk_i32 s4, 0x7fff
	v_add3_u32 v12, v13, v12, s4
                                        ; implicit-def: $vgpr13
; %bb.285:
	s_andn2_saveexec_b64 s[2:3], s[2:3]
; %bb.286:
	v_mov_b32_e32 v12, 0
	v_or_b32_e32 v15, 0x10000, v13
	v_cmp_eq_u32_sdwa vcc, v13, v12 src0_sel:WORD_0 src1_sel:DWORD
	v_cndmask_b32_e32 v12, v15, v13, vcc
; %bb.287:
	s_or_b64 exec, exec, s[2:3]
	v_lshlrev_b32_e32 v13, 16, v14
	v_add_f32_e32 v15, 0xc3080000, v13
	s_mov_b32 s2, 0x7f800000
	v_and_b32_e32 v13, 0x7f800000, v15
	v_cmp_ne_u32_e32 vcc, s2, v13
                                        ; implicit-def: $vgpr13
	s_and_saveexec_b64 s[2:3], vcc
	s_xor_b64 s[2:3], exec, s[2:3]
; %bb.288:
	v_bfe_u32 v13, v15, 16, 1
	s_movk_i32 s4, 0x7fff
	v_add3_u32 v13, v15, v13, s4
                                        ; implicit-def: $vgpr15
; %bb.289:
	s_andn2_saveexec_b64 s[2:3], s[2:3]
; %bb.290:
	v_mov_b32_e32 v13, 0
	v_or_b32_e32 v17, 0x10000, v15
	v_cmp_eq_u32_sdwa vcc, v15, v13 src0_sel:WORD_0 src1_sel:DWORD
	v_cndmask_b32_e32 v13, v17, v15, vcc
; %bb.291:
	s_or_b64 exec, exec, s[2:3]
	v_and_b32_e32 v14, 0xffff0000, v14
	v_add_f32_e32 v15, 0xc3080000, v14
	s_mov_b32 s2, 0x7f800000
	v_and_b32_e32 v14, 0x7f800000, v15
	v_cmp_ne_u32_e32 vcc, s2, v14
                                        ; implicit-def: $vgpr14
	s_and_saveexec_b64 s[2:3], vcc
	s_xor_b64 s[2:3], exec, s[2:3]
; %bb.292:
	v_bfe_u32 v14, v15, 16, 1
	s_movk_i32 s4, 0x7fff
	v_add3_u32 v14, v15, v14, s4
                                        ; implicit-def: $vgpr15
; %bb.293:
	s_andn2_saveexec_b64 s[2:3], s[2:3]
; %bb.294:
	v_mov_b32_e32 v14, 0
	v_or_b32_e32 v17, 0x10000, v15
	v_cmp_eq_u32_sdwa vcc, v15, v14 src0_sel:WORD_0 src1_sel:DWORD
	v_cndmask_b32_e32 v14, v17, v15, vcc
; %bb.295:
	s_or_b64 exec, exec, s[2:3]
	v_lshlrev_b32_e32 v15, 16, v16
	v_add_f32_e32 v17, 0xc3080000, v15
	s_mov_b32 s2, 0x7f800000
	v_and_b32_e32 v15, 0x7f800000, v17
	v_cmp_ne_u32_e32 vcc, s2, v15
                                        ; implicit-def: $vgpr15
	s_and_saveexec_b64 s[2:3], vcc
	s_xor_b64 s[2:3], exec, s[2:3]
; %bb.296:
	v_bfe_u32 v15, v17, 16, 1
	s_movk_i32 s4, 0x7fff
	v_add3_u32 v15, v17, v15, s4
                                        ; implicit-def: $vgpr17
; %bb.297:
	s_andn2_saveexec_b64 s[2:3], s[2:3]
; %bb.298:
	v_mov_b32_e32 v15, 0
	v_or_b32_e32 v18, 0x10000, v17
	v_cmp_eq_u32_sdwa vcc, v17, v15 src0_sel:WORD_0 src1_sel:DWORD
	v_cndmask_b32_e32 v15, v18, v17, vcc
; %bb.299:
	s_or_b64 exec, exec, s[2:3]
	v_and_b32_e32 v16, 0xffff0000, v16
	v_add_f32_e32 v17, 0xc3080000, v16
	s_mov_b32 s2, 0x7f800000
	v_and_b32_e32 v16, 0x7f800000, v17
	v_cmp_ne_u32_e32 vcc, s2, v16
                                        ; implicit-def: $vgpr16
	s_and_saveexec_b64 s[2:3], vcc
	s_xor_b64 s[2:3], exec, s[2:3]
; %bb.300:
	v_bfe_u32 v16, v17, 16, 1
	s_movk_i32 s4, 0x7fff
	v_add3_u32 v16, v17, v16, s4
                                        ; implicit-def: $vgpr17
; %bb.301:
	s_andn2_saveexec_b64 s[2:3], s[2:3]
; %bb.302:
	v_mov_b32_e32 v16, 0
	v_or_b32_e32 v18, 0x10000, v17
	v_cmp_eq_u32_sdwa vcc, v17, v16 src0_sel:WORD_0 src1_sel:DWORD
	v_cndmask_b32_e32 v16, v18, v17, vcc
; %bb.303:
	s_or_b64 exec, exec, s[2:3]
	v_and_b32_e32 v9, 0xffff0000, v9
	s_waitcnt vmcnt(0)
	v_lshlrev_b32_e32 v17, 16, v8
	v_and_b32_e32 v8, 0xffff0000, v8
	v_fma_f32 v18, v9, v17, v8
	s_mov_b32 s2, 0x7f800000
	v_and_b32_e32 v9, 0x7f800000, v18
	v_cmp_ne_u32_e32 vcc, s2, v9
                                        ; implicit-def: $vgpr9
	s_and_saveexec_b64 s[2:3], vcc
	s_xor_b64 s[2:3], exec, s[2:3]
; %bb.304:
	v_bfe_u32 v9, v18, 16, 1
	s_movk_i32 s4, 0x7fff
	v_add3_u32 v9, v18, v9, s4
                                        ; implicit-def: $vgpr18
; %bb.305:
	s_andn2_saveexec_b64 s[2:3], s[2:3]
; %bb.306:
	v_mov_b32_e32 v9, 0
	v_or_b32_e32 v19, 0x10000, v18
	v_cmp_eq_u32_sdwa vcc, v18, v9 src0_sel:WORD_0 src1_sel:DWORD
	v_cndmask_b32_e32 v9, v19, v18, vcc
; %bb.307:
	s_or_b64 exec, exec, s[2:3]
	v_and_b32_e32 v10, 0xffff0000, v10
	v_fma_f32 v18, v10, v17, v8
	s_mov_b32 s2, 0x7f800000
	v_and_b32_e32 v10, 0x7f800000, v18
	v_cmp_ne_u32_e32 vcc, s2, v10
                                        ; implicit-def: $vgpr10
	s_and_saveexec_b64 s[2:3], vcc
	s_xor_b64 s[2:3], exec, s[2:3]
; %bb.308:
	v_bfe_u32 v10, v18, 16, 1
	s_movk_i32 s4, 0x7fff
	v_add3_u32 v10, v18, v10, s4
                                        ; implicit-def: $vgpr18
; %bb.309:
	s_andn2_saveexec_b64 s[2:3], s[2:3]
; %bb.310:
	v_mov_b32_e32 v10, 0
	v_or_b32_e32 v19, 0x10000, v18
	v_cmp_eq_u32_sdwa vcc, v18, v10 src0_sel:WORD_0 src1_sel:DWORD
	v_cndmask_b32_e32 v10, v19, v18, vcc
; %bb.311:
	s_or_b64 exec, exec, s[2:3]
	v_and_b32_e32 v11, 0xffff0000, v11
	v_fma_f32 v18, v11, v17, v8
	s_mov_b32 s2, 0x7f800000
	v_and_b32_e32 v11, 0x7f800000, v18
	v_cmp_ne_u32_e32 vcc, s2, v11
                                        ; implicit-def: $vgpr11
	s_and_saveexec_b64 s[2:3], vcc
	s_xor_b64 s[2:3], exec, s[2:3]
; %bb.312:
	v_bfe_u32 v11, v18, 16, 1
	s_movk_i32 s4, 0x7fff
	v_add3_u32 v11, v18, v11, s4
                                        ; implicit-def: $vgpr18
; %bb.313:
	s_andn2_saveexec_b64 s[2:3], s[2:3]
; %bb.314:
	v_mov_b32_e32 v11, 0
	v_or_b32_e32 v19, 0x10000, v18
	v_cmp_eq_u32_sdwa vcc, v18, v11 src0_sel:WORD_0 src1_sel:DWORD
	v_cndmask_b32_e32 v11, v19, v18, vcc
; %bb.315:
	s_or_b64 exec, exec, s[2:3]
	v_and_b32_e32 v12, 0xffff0000, v12
	v_fma_f32 v18, v12, v17, v8
	s_mov_b32 s2, 0x7f800000
	v_and_b32_e32 v12, 0x7f800000, v18
	v_cmp_ne_u32_e32 vcc, s2, v12
                                        ; implicit-def: $vgpr12
	s_and_saveexec_b64 s[2:3], vcc
	s_xor_b64 s[2:3], exec, s[2:3]
; %bb.316:
	v_bfe_u32 v12, v18, 16, 1
	s_movk_i32 s4, 0x7fff
	v_add3_u32 v12, v18, v12, s4
                                        ; implicit-def: $vgpr18
; %bb.317:
	s_andn2_saveexec_b64 s[2:3], s[2:3]
; %bb.318:
	v_mov_b32_e32 v12, 0
	v_or_b32_e32 v19, 0x10000, v18
	v_cmp_eq_u32_sdwa vcc, v18, v12 src0_sel:WORD_0 src1_sel:DWORD
	v_cndmask_b32_e32 v12, v19, v18, vcc
; %bb.319:
	s_or_b64 exec, exec, s[2:3]
	v_and_b32_e32 v13, 0xffff0000, v13
	v_fma_f32 v18, v13, v17, v8
	s_mov_b32 s2, 0x7f800000
	v_and_b32_e32 v13, 0x7f800000, v18
	v_cmp_ne_u32_e32 vcc, s2, v13
                                        ; implicit-def: $vgpr13
	s_and_saveexec_b64 s[2:3], vcc
	s_xor_b64 s[2:3], exec, s[2:3]
; %bb.320:
	v_bfe_u32 v13, v18, 16, 1
	s_movk_i32 s4, 0x7fff
	v_add3_u32 v13, v18, v13, s4
                                        ; implicit-def: $vgpr18
; %bb.321:
	s_andn2_saveexec_b64 s[2:3], s[2:3]
; %bb.322:
	v_mov_b32_e32 v13, 0
	v_or_b32_e32 v19, 0x10000, v18
	v_cmp_eq_u32_sdwa vcc, v18, v13 src0_sel:WORD_0 src1_sel:DWORD
	v_cndmask_b32_e32 v13, v19, v18, vcc
; %bb.323:
	s_or_b64 exec, exec, s[2:3]
	v_and_b32_e32 v14, 0xffff0000, v14
	v_fma_f32 v18, v14, v17, v8
	s_mov_b32 s2, 0x7f800000
	v_and_b32_e32 v14, 0x7f800000, v18
	v_cmp_ne_u32_e32 vcc, s2, v14
                                        ; implicit-def: $vgpr14
	s_and_saveexec_b64 s[2:3], vcc
	s_xor_b64 s[2:3], exec, s[2:3]
; %bb.324:
	v_bfe_u32 v14, v18, 16, 1
	s_movk_i32 s4, 0x7fff
	v_add3_u32 v14, v18, v14, s4
                                        ; implicit-def: $vgpr18
; %bb.325:
	s_andn2_saveexec_b64 s[2:3], s[2:3]
; %bb.326:
	v_mov_b32_e32 v14, 0
	v_or_b32_e32 v19, 0x10000, v18
	v_cmp_eq_u32_sdwa vcc, v18, v14 src0_sel:WORD_0 src1_sel:DWORD
	v_cndmask_b32_e32 v14, v19, v18, vcc
; %bb.327:
	s_or_b64 exec, exec, s[2:3]
	v_and_b32_e32 v15, 0xffff0000, v15
	v_fma_f32 v18, v15, v17, v8
	s_mov_b32 s2, 0x7f800000
	v_and_b32_e32 v15, 0x7f800000, v18
	v_cmp_ne_u32_e32 vcc, s2, v15
                                        ; implicit-def: $vgpr15
	s_and_saveexec_b64 s[2:3], vcc
	s_xor_b64 s[2:3], exec, s[2:3]
; %bb.328:
	v_bfe_u32 v15, v18, 16, 1
	s_movk_i32 s4, 0x7fff
	v_add3_u32 v15, v18, v15, s4
                                        ; implicit-def: $vgpr18
; %bb.329:
	s_andn2_saveexec_b64 s[2:3], s[2:3]
; %bb.330:
	v_mov_b32_e32 v15, 0
	v_or_b32_e32 v19, 0x10000, v18
	v_cmp_eq_u32_sdwa vcc, v18, v15 src0_sel:WORD_0 src1_sel:DWORD
	v_cndmask_b32_e32 v15, v19, v18, vcc
; %bb.331:
	s_or_b64 exec, exec, s[2:3]
	v_and_b32_e32 v16, 0xffff0000, v16
	v_fmac_f32_e32 v8, v16, v17
	s_mov_b32 s2, 0x7f800000
	v_and_b32_e32 v16, 0x7f800000, v8
	v_cmp_ne_u32_e32 vcc, s2, v16
                                        ; implicit-def: $vgpr16
	s_and_saveexec_b64 s[2:3], vcc
	s_xor_b64 s[2:3], exec, s[2:3]
; %bb.332:
	v_bfe_u32 v16, v8, 16, 1
	s_movk_i32 s4, 0x7fff
	v_add3_u32 v16, v8, v16, s4
                                        ; implicit-def: $vgpr8
; %bb.333:
	s_andn2_saveexec_b64 s[2:3], s[2:3]
; %bb.334:
	v_mov_b32_e32 v16, 0
	v_or_b32_e32 v17, 0x10000, v8
	v_cmp_eq_u32_sdwa vcc, v8, v16 src0_sel:WORD_0 src1_sel:DWORD
	v_cndmask_b32_e32 v16, v17, v8, vcc
; %bb.335:
	s_or_b64 exec, exec, s[2:3]
	s_mov_b32 s2, 0x3020706
	v_perm_b32 v11, v11, v12, s2
	v_perm_b32 v10, v9, v10, s2
	s_nop 1
	v_mfma_f32_16x16x16bf16_1k v[6:9], v[6:7], v[10:11], 0
	v_perm_b32 v11, v15, v16, s2
	v_perm_b32 v10, v13, v14, s2
	s_nop 7
	s_nop 0
	v_pk_add_f32 v[8:9], v[2:3], v[8:9]
	v_pk_add_f32 v[6:7], v[0:1], v[6:7]
	v_mfma_f32_16x16x16bf16_1k v[0:3], v[4:5], v[10:11], 0
	s_nop 7
	s_nop 2
	v_pk_add_f32 v[2:3], v[8:9], v[2:3]
	v_pk_add_f32 v[0:1], v[6:7], v[0:1]
.LBB9_336:
	s_or_b64 exec, exec, s[0:1]
	v_lshlrev_b32_e32 v28, 4, v26
	v_lshl_add_u32 v4, v24, 10, v28
	v_cmp_eq_u32_e32 vcc, 0, v24
	ds_write_b128 v4, v[0:3]
	s_waitcnt lgkmcnt(0)
	s_barrier
	s_and_saveexec_b64 s[0:1], vcc
	s_cbranch_execz .LBB9_361
; %bb.337:
	v_add_u32_e32 v0, 12, v28
	v_add_u32_e32 v1, 0x404, v28
	;; [unrolled: 1-line block ×4, first 2 shown]
	ds_read2st64_b32 v[2:3], v0 offset1:4
	ds_read2st64_b32 v[4:5], v0 offset0:8 offset1:12
	ds_read2_b32 v[10:11], v28 offset0:1 offset1:2
	ds_read2_b32 v[12:13], v1 offset1:1
	ds_read2_b32 v[14:15], v6 offset1:1
	;; [unrolled: 1-line block ×3, first 2 shown]
	v_add_u32_e32 v1, 0x1004, v28
	ds_read2st64_b32 v[6:7], v0 offset0:16 offset1:20
	v_add_u32_e32 v20, 0x1404, v28
	v_add_u32_e32 v22, 0x1804, v28
	ds_read2st64_b32 v[8:9], v0 offset0:24 offset1:28
	v_add_u32_e32 v0, 0x1c04, v28
	ds_read2_b32 v[18:19], v1 offset1:1
	ds_read2_b32 v[20:21], v20 offset1:1
	;; [unrolled: 1-line block ×4, first 2 shown]
	v_and_b32_e32 v0, 0xfc, v27
	v_lshl_add_u32 v27, s8, 4, v0
	v_mul_lo_u32 v30, v27, s17
	v_ashrrev_i32_e32 v31, 31, v30
	s_lshl_b32 s0, s7, 4
	v_lshlrev_b64 v[30:31], 1, v[30:31]
	v_and_or_b32 v0, v26, 15, s0
	v_mov_b32_e32 v1, s15
	v_add_co_u32_e32 v26, vcc, s14, v30
	v_addc_co_u32_e32 v29, vcc, v1, v31, vcc
	v_ashrrev_i32_e32 v1, 31, v0
	v_lshlrev_b64 v[0:1], 1, v[0:1]
	v_add_co_u32_e32 v0, vcc, v26, v0
	v_addc_co_u32_e32 v1, vcc, v29, v1, vcc
	v_cmp_gt_i32_e32 vcc, s16, v27
	s_and_saveexec_b64 s[0:1], vcc
	s_cbranch_execz .LBB9_343
; %bb.338:
	ds_read2st64_b32 v[30:31], v28 offset1:4
	ds_read2st64_b32 v[32:33], v28 offset0:8 offset1:12
	ds_read2st64_b32 v[34:35], v28 offset0:16 offset1:20
	;; [unrolled: 1-line block ×3, first 2 shown]
	s_mov_b32 s2, 0x7f800000
	s_waitcnt lgkmcnt(3)
	v_add_f32_e32 v26, 0, v30
	v_add_f32_e32 v26, v26, v31
	s_waitcnt lgkmcnt(2)
	v_add_f32_e32 v26, v26, v32
	v_add_f32_e32 v26, v26, v33
	s_waitcnt lgkmcnt(1)
	v_add_f32_e32 v26, v26, v34
	v_add_f32_e32 v26, v26, v35
	s_waitcnt lgkmcnt(0)
	v_add_f32_e32 v26, v26, v28
	v_add_f32_e32 v26, v26, v29
	v_and_b32_e32 v28, 0x7f800000, v26
	v_cmp_ne_u32_e32 vcc, s2, v28
                                        ; implicit-def: $vgpr28
	s_and_saveexec_b64 s[2:3], vcc
	s_xor_b64 s[2:3], exec, s[2:3]
; %bb.339:
	v_bfe_u32 v28, v26, 16, 1
	s_movk_i32 s4, 0x7fff
	v_add3_u32 v28, v26, v28, s4
                                        ; implicit-def: $vgpr26
; %bb.340:
	s_andn2_saveexec_b64 s[2:3], s[2:3]
; %bb.341:
	v_mov_b32_e32 v28, 0
	v_or_b32_e32 v29, 0x10000, v26
	v_cmp_eq_u32_sdwa vcc, v26, v28 src0_sel:WORD_0 src1_sel:DWORD
	v_cndmask_b32_e32 v28, v29, v26, vcc
; %bb.342:
	s_or_b64 exec, exec, s[2:3]
	global_store_short_d16_hi v[0:1], v28, off
.LBB9_343:
	s_or_b64 exec, exec, s[0:1]
	v_or_b32_e32 v26, 1, v27
	v_cmp_gt_i32_e32 vcc, s16, v26
	s_and_saveexec_b64 s[0:1], vcc
	s_cbranch_execz .LBB9_349
; %bb.344:
	s_waitcnt lgkmcnt(9)
	v_add_f32_e32 v10, 0, v10
	s_waitcnt lgkmcnt(8)
	v_add_f32_e32 v10, v10, v12
	;; [unrolled: 2-line block ×8, first 2 shown]
	s_mov_b32 s2, 0x7f800000
	v_and_b32_e32 v10, 0x7f800000, v12
	v_cmp_ne_u32_e32 vcc, s2, v10
                                        ; implicit-def: $vgpr10
	s_and_saveexec_b64 s[2:3], vcc
	s_xor_b64 s[2:3], exec, s[2:3]
; %bb.345:
	v_bfe_u32 v10, v12, 16, 1
	s_movk_i32 s4, 0x7fff
	v_add3_u32 v10, v12, v10, s4
                                        ; implicit-def: $vgpr12
; %bb.346:
	s_andn2_saveexec_b64 s[2:3], s[2:3]
; %bb.347:
	v_mov_b32_e32 v10, 0
	v_or_b32_e32 v14, 0x10000, v12
	v_cmp_eq_u32_sdwa vcc, v12, v10 src0_sel:WORD_0 src1_sel:DWORD
	v_cndmask_b32_e32 v10, v14, v12, vcc
; %bb.348:
	s_or_b64 exec, exec, s[2:3]
	s_ashr_i32 s3, s17, 31
	s_mov_b32 s2, s17
	s_lshl_b64 s[2:3], s[2:3], 1
	v_mov_b32_e32 v12, s3
	v_add_co_u32_e32 v28, vcc, s2, v0
	v_addc_co_u32_e32 v29, vcc, v1, v12, vcc
	global_store_short_d16_hi v[28:29], v10, off
.LBB9_349:
	s_or_b64 exec, exec, s[0:1]
	s_waitcnt lgkmcnt(9)
	v_or_b32_e32 v10, 2, v27
	v_cmp_gt_i32_e32 vcc, s16, v10
	s_and_saveexec_b64 s[0:1], vcc
	s_cbranch_execz .LBB9_355
; %bb.350:
	v_add_f32_e32 v10, 0, v11
	s_waitcnt lgkmcnt(8)
	v_add_f32_e32 v10, v10, v13
	s_waitcnt lgkmcnt(7)
	;; [unrolled: 2-line block ×7, first 2 shown]
	v_add_f32_e32 v11, v10, v25
	s_mov_b32 s2, 0x7f800000
	v_and_b32_e32 v10, 0x7f800000, v11
	v_cmp_ne_u32_e32 vcc, s2, v10
                                        ; implicit-def: $vgpr10
	s_and_saveexec_b64 s[2:3], vcc
	s_xor_b64 s[2:3], exec, s[2:3]
; %bb.351:
	v_bfe_u32 v10, v11, 16, 1
	s_movk_i32 s4, 0x7fff
	v_add3_u32 v10, v11, v10, s4
                                        ; implicit-def: $vgpr11
; %bb.352:
	s_andn2_saveexec_b64 s[2:3], s[2:3]
; %bb.353:
	v_mov_b32_e32 v10, 0
	v_or_b32_e32 v12, 0x10000, v11
	v_cmp_eq_u32_sdwa vcc, v11, v10 src0_sel:WORD_0 src1_sel:DWORD
	v_cndmask_b32_e32 v10, v12, v11, vcc
; %bb.354:
	s_or_b64 exec, exec, s[2:3]
	s_lshl_b32 s2, s17, 1
	s_ashr_i32 s3, s2, 31
	s_lshl_b64 s[2:3], s[2:3], 1
	v_mov_b32_e32 v11, s3
	v_add_co_u32_e32 v12, vcc, s2, v0
	v_addc_co_u32_e32 v13, vcc, v1, v11, vcc
	global_store_short_d16_hi v[12:13], v10, off
.LBB9_355:
	s_or_b64 exec, exec, s[0:1]
	v_or_b32_e32 v10, 3, v27
	v_cmp_gt_i32_e32 vcc, s16, v10
	s_and_b64 exec, exec, vcc
	s_cbranch_execz .LBB9_361
; %bb.356:
	v_add_f32_e32 v2, 0, v2
	v_add_f32_e32 v2, v2, v3
	;; [unrolled: 1-line block ×4, first 2 shown]
	s_waitcnt lgkmcnt(5)
	v_add_f32_e32 v2, v2, v6
	v_add_f32_e32 v2, v2, v7
	s_waitcnt lgkmcnt(4)
	v_add_f32_e32 v2, v2, v8
	v_add_f32_e32 v3, v2, v9
	s_mov_b32 s0, 0x7f800000
	v_and_b32_e32 v2, 0x7f800000, v3
	v_cmp_ne_u32_e32 vcc, s0, v2
                                        ; implicit-def: $vgpr2
	s_and_saveexec_b64 s[0:1], vcc
	s_xor_b64 s[0:1], exec, s[0:1]
; %bb.357:
	v_bfe_u32 v2, v3, 16, 1
	s_movk_i32 s2, 0x7fff
	v_add3_u32 v2, v3, v2, s2
                                        ; implicit-def: $vgpr3
; %bb.358:
	s_andn2_saveexec_b64 s[0:1], s[0:1]
; %bb.359:
	v_mov_b32_e32 v2, 0
	v_or_b32_e32 v4, 0x10000, v3
	v_cmp_eq_u32_sdwa vcc, v3, v2 src0_sel:WORD_0 src1_sel:DWORD
	v_cndmask_b32_e32 v2, v4, v3, vcc
; %bb.360:
	s_or_b64 exec, exec, s[0:1]
	s_mul_i32 s0, s17, 3
	s_ashr_i32 s1, s0, 31
	s_lshl_b64 s[0:1], s[0:1], 1
	v_mov_b32_e32 v3, s1
	v_add_co_u32_e32 v0, vcc, s0, v0
	v_addc_co_u32_e32 v1, vcc, v1, v3, vcc
	global_store_short_d16_hi v[0:1], v2, off
.LBB9_361:
	s_endpgm
	.section	.rodata,"a",@progbits
	.p2align	6, 0x0
	.amdhsa_kernel _ZN2at6native30tinygemm_m16n8k16_chunk_kernelINS0_10ALayout_RMILNS0_14KReductionTypeE0EEENS0_15BLayout_TC_int4ILi2ELi256EEES4_Li8ELi8EEEvPKvS8_S8_Pviiiiii
		.amdhsa_group_segment_fixed_size 8192
		.amdhsa_private_segment_fixed_size 0
		.amdhsa_kernarg_size 56
		.amdhsa_user_sgpr_count 6
		.amdhsa_user_sgpr_private_segment_buffer 1
		.amdhsa_user_sgpr_dispatch_ptr 0
		.amdhsa_user_sgpr_queue_ptr 0
		.amdhsa_user_sgpr_kernarg_segment_ptr 1
		.amdhsa_user_sgpr_dispatch_id 0
		.amdhsa_user_sgpr_flat_scratch_init 0
		.amdhsa_user_sgpr_kernarg_preload_length 0
		.amdhsa_user_sgpr_kernarg_preload_offset 0
		.amdhsa_user_sgpr_private_segment_size 0
		.amdhsa_uses_dynamic_stack 0
		.amdhsa_system_sgpr_private_segment_wavefront_offset 0
		.amdhsa_system_sgpr_workgroup_id_x 1
		.amdhsa_system_sgpr_workgroup_id_y 1
		.amdhsa_system_sgpr_workgroup_id_z 1
		.amdhsa_system_sgpr_workgroup_info 0
		.amdhsa_system_vgpr_workitem_id 1
		.amdhsa_next_free_vgpr 70
		.amdhsa_next_free_sgpr 29
		.amdhsa_accum_offset 72
		.amdhsa_reserve_vcc 1
		.amdhsa_reserve_flat_scratch 0
		.amdhsa_float_round_mode_32 0
		.amdhsa_float_round_mode_16_64 0
		.amdhsa_float_denorm_mode_32 3
		.amdhsa_float_denorm_mode_16_64 3
		.amdhsa_dx10_clamp 1
		.amdhsa_ieee_mode 1
		.amdhsa_fp16_overflow 0
		.amdhsa_tg_split 0
		.amdhsa_exception_fp_ieee_invalid_op 0
		.amdhsa_exception_fp_denorm_src 0
		.amdhsa_exception_fp_ieee_div_zero 0
		.amdhsa_exception_fp_ieee_overflow 0
		.amdhsa_exception_fp_ieee_underflow 0
		.amdhsa_exception_fp_ieee_inexact 0
		.amdhsa_exception_int_div_zero 0
	.end_amdhsa_kernel
	.section	.text._ZN2at6native30tinygemm_m16n8k16_chunk_kernelINS0_10ALayout_RMILNS0_14KReductionTypeE0EEENS0_15BLayout_TC_int4ILi2ELi256EEES4_Li8ELi8EEEvPKvS8_S8_Pviiiiii,"axG",@progbits,_ZN2at6native30tinygemm_m16n8k16_chunk_kernelINS0_10ALayout_RMILNS0_14KReductionTypeE0EEENS0_15BLayout_TC_int4ILi2ELi256EEES4_Li8ELi8EEEvPKvS8_S8_Pviiiiii,comdat
.Lfunc_end9:
	.size	_ZN2at6native30tinygemm_m16n8k16_chunk_kernelINS0_10ALayout_RMILNS0_14KReductionTypeE0EEENS0_15BLayout_TC_int4ILi2ELi256EEES4_Li8ELi8EEEvPKvS8_S8_Pviiiiii, .Lfunc_end9-_ZN2at6native30tinygemm_m16n8k16_chunk_kernelINS0_10ALayout_RMILNS0_14KReductionTypeE0EEENS0_15BLayout_TC_int4ILi2ELi256EEES4_Li8ELi8EEEvPKvS8_S8_Pviiiiii
                                        ; -- End function
	.section	.AMDGPU.csdata,"",@progbits
; Kernel info:
; codeLenInByte = 9816
; NumSgprs: 33
; NumVgprs: 70
; NumAgprs: 0
; TotalNumVgprs: 70
; ScratchSize: 0
; MemoryBound: 0
; FloatMode: 240
; IeeeMode: 1
; LDSByteSize: 8192 bytes/workgroup (compile time only)
; SGPRBlocks: 4
; VGPRBlocks: 8
; NumSGPRsForWavesPerEU: 33
; NumVGPRsForWavesPerEU: 70
; AccumOffset: 72
; Occupancy: 7
; WaveLimiterHint : 1
; COMPUTE_PGM_RSRC2:SCRATCH_EN: 0
; COMPUTE_PGM_RSRC2:USER_SGPR: 6
; COMPUTE_PGM_RSRC2:TRAP_HANDLER: 0
; COMPUTE_PGM_RSRC2:TGID_X_EN: 1
; COMPUTE_PGM_RSRC2:TGID_Y_EN: 1
; COMPUTE_PGM_RSRC2:TGID_Z_EN: 1
; COMPUTE_PGM_RSRC2:TIDIG_COMP_CNT: 1
; COMPUTE_PGM_RSRC3_GFX90A:ACCUM_OFFSET: 17
; COMPUTE_PGM_RSRC3_GFX90A:TG_SPLIT: 0
	.section	.text._ZN2at6native30tinygemm_m16n8k16_chunk_kernelINS0_10ALayout_RMILNS0_14KReductionTypeE0EEENS0_15BLayout_TC_int4ILi4ELi256EEES4_Li8ELi8EEEvPKvS8_S8_Pviiiiii,"axG",@progbits,_ZN2at6native30tinygemm_m16n8k16_chunk_kernelINS0_10ALayout_RMILNS0_14KReductionTypeE0EEENS0_15BLayout_TC_int4ILi4ELi256EEES4_Li8ELi8EEEvPKvS8_S8_Pviiiiii,comdat
	.protected	_ZN2at6native30tinygemm_m16n8k16_chunk_kernelINS0_10ALayout_RMILNS0_14KReductionTypeE0EEENS0_15BLayout_TC_int4ILi4ELi256EEES4_Li8ELi8EEEvPKvS8_S8_Pviiiiii ; -- Begin function _ZN2at6native30tinygemm_m16n8k16_chunk_kernelINS0_10ALayout_RMILNS0_14KReductionTypeE0EEENS0_15BLayout_TC_int4ILi4ELi256EEES4_Li8ELi8EEEvPKvS8_S8_Pviiiiii
	.globl	_ZN2at6native30tinygemm_m16n8k16_chunk_kernelINS0_10ALayout_RMILNS0_14KReductionTypeE0EEENS0_15BLayout_TC_int4ILi4ELi256EEES4_Li8ELi8EEEvPKvS8_S8_Pviiiiii
	.p2align	8
	.type	_ZN2at6native30tinygemm_m16n8k16_chunk_kernelINS0_10ALayout_RMILNS0_14KReductionTypeE0EEENS0_15BLayout_TC_int4ILi4ELi256EEES4_Li8ELi8EEEvPKvS8_S8_Pviiiiii,@function
_ZN2at6native30tinygemm_m16n8k16_chunk_kernelINS0_10ALayout_RMILNS0_14KReductionTypeE0EEENS0_15BLayout_TC_int4ILi4ELi256EEES4_Li8ELi8EEEvPKvS8_S8_Pviiiiii: ; @_ZN2at6native30tinygemm_m16n8k16_chunk_kernelINS0_10ALayout_RMILNS0_14KReductionTypeE0EEENS0_15BLayout_TC_int4ILi4ELi256EEES4_Li8ELi8EEEvPKvS8_S8_Pviiiiii
; %bb.0:
	s_load_dwordx2 s[2:3], s[4:5], 0x30
	s_load_dwordx4 s[20:23], s[4:5], 0x0
	s_load_dwordx8 s[12:19], s[4:5], 0x10
	v_bfe_u32 v28, v0, 10, 10
	s_mov_b32 s24, 0
	s_waitcnt lgkmcnt(0)
	s_ashr_i32 s9, s3, 31
	s_lshr_b32 s0, s9, 29
	v_and_b32_e32 v26, 0x3ff, v0
	s_add_i32 s0, s3, s0
	v_lshlrev_b32_e32 v0, 3, v28
	s_mov_b32 s25, s24
	s_and_b32 s19, s0, -8
	v_lshl_add_u32 v31, s6, 6, v0
	s_mov_b32 s26, s24
	s_mov_b32 s27, s24
	v_pk_mov_b32 v[0:1], s[24:25], s[24:25] op_sel:[0,1]
	v_cmp_gt_i32_e32 vcc, s19, v31
	v_pk_mov_b32 v[2:3], s[26:27], s[26:27] op_sel:[0,1]
	v_and_b32_e32 v29, 15, v26
	v_lshrrev_b32_e32 v27, 2, v26
	v_lshlrev_b32_e32 v30, 1, v26
	s_and_saveexec_b64 s[4:5], vcc
	s_cbranch_execz .LBB10_268
; %bb.1:
	v_lshl_or_b32 v2, s8, 4, v29
	v_mul_lo_u32 v0, v2, s18
	v_ashrrev_i32_e32 v1, 31, v0
	v_lshlrev_b64 v[0:1], 1, v[0:1]
	s_lshr_b32 s0, s9, 30
	v_mov_b32_e32 v4, s21
	v_add_co_u32_e32 v32, vcc, s20, v0
	s_add_i32 s0, s3, s0
	v_and_b32_e32 v3, 0xfc, v27
	v_addc_co_u32_e32 v33, vcc, v4, v1, vcc
	s_ashr_i32 s26, s0, 2
	s_lshl_b32 s0, s6, 10
	v_lshlrev_b32_e32 v0, 7, v28
	v_mov_b32_e32 v35, 0
	v_cmp_gt_i32_e32 vcc, s16, v2
	s_mul_i32 s26, s26, s7
	v_lshl_or_b32 v34, s7, 4, v29
	s_lshl_b32 s27, s2, 4
	v_add3_u32 v4, s0, v0, v3
	s_mov_b64 s[10:11], 0
	v_mov_b32_e32 v36, 0xf000f
	v_mov_b32_e32 v37, 0x43004300
	s_mov_b32 s6, 0x7f800000
	s_movk_i32 s28, 0x7fff
	s_mov_b32 s29, 0x3020706
	v_mov_b32_e32 v0, 0
	v_mov_b32_e32 v1, v35
	;; [unrolled: 1-line block ×4, first 2 shown]
	s_branch .LBB10_3
.LBB10_2:                               ;   in Loop: Header=BB10_3 Depth=1
	s_or_b64 exec, exec, s[24:25]
	v_perm_b32 v41, v40, v41, s29
	v_perm_b32 v40, v5, v38, s29
	;; [unrolled: 1-line block ×4, first 2 shown]
	v_mfma_f32_16x16x16bf16_1k v[66:69], v[8:9], v[40:41], 0
	v_perm_b32 v9, v44, v45, s29
	v_perm_b32 v8, v42, v43, s29
	v_perm_b32 v41, v47, v48, s29
	v_perm_b32 v40, v25, v46, s29
	v_perm_b32 v25, v54, v55, s29
	v_perm_b32 v38, v63, v64, s29
	v_add_u32_e32 v31, 64, v31
	v_mfma_f32_16x16x16bf16_1k v[6:9], v[6:7], v[8:9], 0
	s_nop 2
	v_pk_add_f32 v[2:3], v[2:3], v[68:69]
	v_pk_add_f32 v[0:1], v[0:1], v[66:67]
	v_cmp_le_i32_e64 s[0:1], s19, v31
	s_or_b64 s[10:11], s[0:1], s[10:11]
	v_add_u32_e32 v4, 0x400, v4
	s_nop 2
	v_pk_add_f32 v[2:3], v[2:3], v[8:9]
	v_mfma_f32_16x16x16bf16_1k v[40:43], v[16:17], v[40:41], 0
	v_perm_b32 v17, v51, v52, s29
	v_perm_b32 v16, v49, v50, s29
	v_pk_add_f32 v[0:1], v[0:1], v[6:7]
	s_nop 0
	v_mfma_f32_16x16x16bf16_1k v[14:17], v[14:15], v[16:17], 0
	s_nop 5
	v_pk_add_f32 v[2:3], v[2:3], v[42:43]
	v_pk_add_f32 v[6:7], v[0:1], v[40:41]
	v_mfma_f32_16x16x16bf16_1k v[44:47], v[10:11], v[24:25], 0
	v_perm_b32 v11, v58, v59, s29
	v_perm_b32 v10, v56, v57, s29
	;; [unrolled: 1-line block ×4, first 2 shown]
	v_pk_add_f32 v[8:9], v[2:3], v[16:17]
	v_pk_add_f32 v[6:7], v[6:7], v[14:15]
	s_nop 4
	v_pk_add_f32 v[8:9], v[8:9], v[46:47]
	v_mfma_f32_16x16x16bf16_1k v[20:23], v[20:21], v[10:11], 0
	v_pk_add_f32 v[6:7], v[6:7], v[44:45]
	v_mfma_f32_16x16x16bf16_1k v[0:3], v[18:19], v[24:25], 0
	s_nop 7
	s_nop 0
	v_pk_add_f32 v[8:9], v[8:9], v[22:23]
	v_pk_add_f32 v[6:7], v[6:7], v[20:21]
	;; [unrolled: 1-line block ×4, first 2 shown]
	v_mfma_f32_16x16x16bf16_1k v[0:3], v[12:13], v[38:39], 0
	s_nop 7
	s_nop 2
	v_pk_add_f32 v[2:3], v[8:9], v[2:3]
	v_pk_add_f32 v[0:1], v[6:7], v[0:1]
	s_andn2_b64 exec, exec, s[10:11]
	s_cbranch_execz .LBB10_267
.LBB10_3:                               ; =>This Inner Loop Header: Depth=1
	v_ashrrev_i32_e32 v5, 31, v4
	v_lshlrev_b64 v[6:7], 1, v[4:5]
	v_add_co_u32_e64 v22, s[0:1], v32, v6
	v_addc_co_u32_e64 v23, s[0:1], v33, v7, s[0:1]
	v_mov_b32_e32 v8, 0
	v_mov_b32_e32 v9, 0
	;; [unrolled: 1-line block ×4, first 2 shown]
	s_and_saveexec_b64 s[0:1], vcc
	s_cbranch_execz .LBB10_5
; %bb.4:                                ;   in Loop: Header=BB10_3 Depth=1
	global_load_dwordx2 v[8:9], v[22:23], off
	global_load_dwordx2 v[6:7], v[22:23], off offset:32
.LBB10_5:                               ;   in Loop: Header=BB10_3 Depth=1
	s_or_b64 exec, exec, s[0:1]
	v_mov_b32_e32 v10, 0
	v_mov_b32_e32 v16, 0
	v_mov_b32_e32 v17, 0
	v_mov_b32_e32 v14, 0
	v_mov_b32_e32 v15, 0
	s_and_saveexec_b64 s[0:1], vcc
	s_cbranch_execz .LBB10_7
; %bb.6:                                ;   in Loop: Header=BB10_3 Depth=1
	global_load_dwordx2 v[16:17], v[22:23], off offset:64
	global_load_dwordx2 v[14:15], v[22:23], off offset:96
.LBB10_7:                               ;   in Loop: Header=BB10_3 Depth=1
	s_or_b64 exec, exec, s[0:1]
	v_mov_b32_e32 v11, 0
	v_mov_b32_e32 v20, 0
	v_mov_b32_e32 v21, 0
	s_and_saveexec_b64 s[0:1], vcc
	s_cbranch_execz .LBB10_9
; %bb.8:                                ;   in Loop: Header=BB10_3 Depth=1
	global_load_dwordx2 v[10:11], v[22:23], off offset:128
	global_load_dwordx2 v[20:21], v[22:23], off offset:160
.LBB10_9:                               ;   in Loop: Header=BB10_3 Depth=1
	s_or_b64 exec, exec, s[0:1]
	v_mov_b32_e32 v18, 0
	v_mov_b32_e32 v19, 0
	;; [unrolled: 1-line block ×4, first 2 shown]
	s_and_saveexec_b64 s[0:1], vcc
	s_cbranch_execz .LBB10_11
; %bb.10:                               ;   in Loop: Header=BB10_3 Depth=1
	global_load_dwordx2 v[18:19], v[22:23], off offset:192
	global_load_dwordx2 v[12:13], v[22:23], off offset:224
.LBB10_11:                              ;   in Loop: Header=BB10_3 Depth=1
	s_or_b64 exec, exec, s[0:1]
	v_lshrrev_b32_e32 v5, 2, v31
	v_add_u32_e32 v5, s26, v5
	v_lshl_add_u32 v22, v5, 7, v30
	v_ashrrev_i32_e32 v23, 31, v22
	v_lshlrev_b64 v[22:23], 2, v[22:23]
	v_mov_b32_e32 v5, s23
	v_add_co_u32_e64 v38, s[0:1], s22, v22
	v_addc_co_u32_e64 v39, s[0:1], v5, v23, s[0:1]
	v_ashrrev_i32_e32 v5, 31, v31
	v_lshrrev_b32_e32 v5, 28, v5
	v_add_u32_e32 v5, v31, v5
	v_ashrrev_i32_e32 v5, 4, v5
	v_mul_lo_u32 v5, s27, v5
	global_load_dwordx2 v[24:25], v[38:39], off
	global_load_dwordx2 v[22:23], v[38:39], off offset:512
	v_add_lshl_u32 v38, v34, v5, 1
	v_ashrrev_i32_e32 v39, 31, v38
	v_lshlrev_b64 v[38:39], 1, v[38:39]
	v_mov_b32_e32 v5, s13
	v_add_co_u32_e64 v38, s[0:1], s12, v38
	v_addc_co_u32_e64 v39, s[0:1], v5, v39, s[0:1]
	global_load_dword v5, v[38:39], off
	s_waitcnt vmcnt(2)
	;;#ASMSTART
	v_and_or_b32 v38, v24, v36, v37
	;;#ASMEND
	v_lshrrev_b32_e32 v39, 4, v24
	v_lshrrev_b32_e32 v40, 8, v24
	;; [unrolled: 1-line block ×3, first 2 shown]
	;;#ASMSTART
	v_and_or_b32 v41, v39, v36, v37
	;;#ASMEND
	;;#ASMSTART
	v_and_or_b32 v43, v40, v36, v37
	;;#ASMEND
	;; [unrolled: 3-line block ×3, first 2 shown]
	v_lshlrev_b32_e32 v24, 16, v38
	v_add_f32_e32 v40, 0xc3080000, v24
	v_and_b32_e32 v24, 0x7f800000, v40
	v_cmp_ne_u32_e64 s[0:1], s6, v24
                                        ; implicit-def: $vgpr24
	s_and_saveexec_b64 s[24:25], s[0:1]
	s_xor_b64 s[0:1], exec, s[24:25]
; %bb.12:                               ;   in Loop: Header=BB10_3 Depth=1
	v_bfe_u32 v24, v40, 16, 1
	v_add3_u32 v24, v40, v24, s28
                                        ; implicit-def: $vgpr40
; %bb.13:                               ;   in Loop: Header=BB10_3 Depth=1
	s_andn2_saveexec_b64 s[24:25], s[0:1]
; %bb.14:                               ;   in Loop: Header=BB10_3 Depth=1
	v_or_b32_e32 v24, 0x10000, v40
	v_cmp_eq_u32_sdwa s[0:1], v40, v35 src0_sel:WORD_0 src1_sel:DWORD
	v_cndmask_b32_e64 v24, v24, v40, s[0:1]
; %bb.15:                               ;   in Loop: Header=BB10_3 Depth=1
	s_or_b64 exec, exec, s[24:25]
	v_and_b32_e32 v38, 0xffff0000, v38
	v_add_f32_e32 v40, 0xc3080000, v38
	v_and_b32_e32 v38, 0x7f800000, v40
	v_cmp_ne_u32_e64 s[0:1], s6, v38
                                        ; implicit-def: $vgpr38
	s_and_saveexec_b64 s[24:25], s[0:1]
	s_xor_b64 s[0:1], exec, s[24:25]
; %bb.16:                               ;   in Loop: Header=BB10_3 Depth=1
	v_bfe_u32 v38, v40, 16, 1
	v_add3_u32 v38, v40, v38, s28
                                        ; implicit-def: $vgpr40
; %bb.17:                               ;   in Loop: Header=BB10_3 Depth=1
	s_andn2_saveexec_b64 s[24:25], s[0:1]
; %bb.18:                               ;   in Loop: Header=BB10_3 Depth=1
	v_or_b32_e32 v38, 0x10000, v40
	v_cmp_eq_u32_sdwa s[0:1], v40, v35 src0_sel:WORD_0 src1_sel:DWORD
	v_cndmask_b32_e64 v38, v38, v40, s[0:1]
; %bb.19:                               ;   in Loop: Header=BB10_3 Depth=1
	s_or_b64 exec, exec, s[24:25]
	v_lshlrev_b32_e32 v40, 16, v41
	v_add_f32_e32 v42, 0xc3080000, v40
	v_and_b32_e32 v40, 0x7f800000, v42
	v_cmp_ne_u32_e64 s[0:1], s6, v40
                                        ; implicit-def: $vgpr40
	s_and_saveexec_b64 s[24:25], s[0:1]
	s_xor_b64 s[0:1], exec, s[24:25]
; %bb.20:                               ;   in Loop: Header=BB10_3 Depth=1
	v_bfe_u32 v40, v42, 16, 1
	v_add3_u32 v40, v42, v40, s28
                                        ; implicit-def: $vgpr42
; %bb.21:                               ;   in Loop: Header=BB10_3 Depth=1
	s_andn2_saveexec_b64 s[24:25], s[0:1]
; %bb.22:                               ;   in Loop: Header=BB10_3 Depth=1
	v_or_b32_e32 v40, 0x10000, v42
	v_cmp_eq_u32_sdwa s[0:1], v42, v35 src0_sel:WORD_0 src1_sel:DWORD
	v_cndmask_b32_e64 v40, v40, v42, s[0:1]
; %bb.23:                               ;   in Loop: Header=BB10_3 Depth=1
	s_or_b64 exec, exec, s[24:25]
	v_and_b32_e32 v41, 0xffff0000, v41
	v_add_f32_e32 v42, 0xc3080000, v41
	v_and_b32_e32 v41, 0x7f800000, v42
	v_cmp_ne_u32_e64 s[0:1], s6, v41
                                        ; implicit-def: $vgpr41
	s_and_saveexec_b64 s[24:25], s[0:1]
	s_xor_b64 s[0:1], exec, s[24:25]
; %bb.24:                               ;   in Loop: Header=BB10_3 Depth=1
	v_bfe_u32 v41, v42, 16, 1
	v_add3_u32 v41, v42, v41, s28
                                        ; implicit-def: $vgpr42
; %bb.25:                               ;   in Loop: Header=BB10_3 Depth=1
	s_andn2_saveexec_b64 s[24:25], s[0:1]
; %bb.26:                               ;   in Loop: Header=BB10_3 Depth=1
	v_or_b32_e32 v41, 0x10000, v42
	v_cmp_eq_u32_sdwa s[0:1], v42, v35 src0_sel:WORD_0 src1_sel:DWORD
	v_cndmask_b32_e64 v41, v41, v42, s[0:1]
; %bb.27:                               ;   in Loop: Header=BB10_3 Depth=1
	s_or_b64 exec, exec, s[24:25]
	v_lshlrev_b32_e32 v42, 16, v43
	v_add_f32_e32 v44, 0xc3080000, v42
	v_and_b32_e32 v42, 0x7f800000, v44
	v_cmp_ne_u32_e64 s[0:1], s6, v42
                                        ; implicit-def: $vgpr42
	s_and_saveexec_b64 s[24:25], s[0:1]
	s_xor_b64 s[0:1], exec, s[24:25]
; %bb.28:                               ;   in Loop: Header=BB10_3 Depth=1
	v_bfe_u32 v42, v44, 16, 1
	v_add3_u32 v42, v44, v42, s28
                                        ; implicit-def: $vgpr44
; %bb.29:                               ;   in Loop: Header=BB10_3 Depth=1
	s_andn2_saveexec_b64 s[24:25], s[0:1]
; %bb.30:                               ;   in Loop: Header=BB10_3 Depth=1
	v_or_b32_e32 v42, 0x10000, v44
	v_cmp_eq_u32_sdwa s[0:1], v44, v35 src0_sel:WORD_0 src1_sel:DWORD
	v_cndmask_b32_e64 v42, v42, v44, s[0:1]
; %bb.31:                               ;   in Loop: Header=BB10_3 Depth=1
	s_or_b64 exec, exec, s[24:25]
	v_and_b32_e32 v43, 0xffff0000, v43
	v_add_f32_e32 v44, 0xc3080000, v43
	v_and_b32_e32 v43, 0x7f800000, v44
	v_cmp_ne_u32_e64 s[0:1], s6, v43
                                        ; implicit-def: $vgpr43
	s_and_saveexec_b64 s[24:25], s[0:1]
	s_xor_b64 s[0:1], exec, s[24:25]
; %bb.32:                               ;   in Loop: Header=BB10_3 Depth=1
	v_bfe_u32 v43, v44, 16, 1
	v_add3_u32 v43, v44, v43, s28
                                        ; implicit-def: $vgpr44
; %bb.33:                               ;   in Loop: Header=BB10_3 Depth=1
	s_andn2_saveexec_b64 s[24:25], s[0:1]
; %bb.34:                               ;   in Loop: Header=BB10_3 Depth=1
	v_or_b32_e32 v43, 0x10000, v44
	v_cmp_eq_u32_sdwa s[0:1], v44, v35 src0_sel:WORD_0 src1_sel:DWORD
	v_cndmask_b32_e64 v43, v43, v44, s[0:1]
; %bb.35:                               ;   in Loop: Header=BB10_3 Depth=1
	s_or_b64 exec, exec, s[24:25]
	v_lshlrev_b32_e32 v44, 16, v39
	v_add_f32_e32 v45, 0xc3080000, v44
	v_and_b32_e32 v44, 0x7f800000, v45
	v_cmp_ne_u32_e64 s[0:1], s6, v44
                                        ; implicit-def: $vgpr44
	s_and_saveexec_b64 s[24:25], s[0:1]
	s_xor_b64 s[0:1], exec, s[24:25]
; %bb.36:                               ;   in Loop: Header=BB10_3 Depth=1
	v_bfe_u32 v44, v45, 16, 1
	v_add3_u32 v44, v45, v44, s28
                                        ; implicit-def: $vgpr45
; %bb.37:                               ;   in Loop: Header=BB10_3 Depth=1
	s_andn2_saveexec_b64 s[24:25], s[0:1]
; %bb.38:                               ;   in Loop: Header=BB10_3 Depth=1
	v_or_b32_e32 v44, 0x10000, v45
	v_cmp_eq_u32_sdwa s[0:1], v45, v35 src0_sel:WORD_0 src1_sel:DWORD
	v_cndmask_b32_e64 v44, v44, v45, s[0:1]
; %bb.39:                               ;   in Loop: Header=BB10_3 Depth=1
	s_or_b64 exec, exec, s[24:25]
	v_and_b32_e32 v39, 0xffff0000, v39
	v_add_f32_e32 v39, 0xc3080000, v39
	v_and_b32_e32 v45, 0x7f800000, v39
	v_cmp_ne_u32_e64 s[0:1], s6, v45
                                        ; implicit-def: $vgpr45
	s_and_saveexec_b64 s[24:25], s[0:1]
	s_xor_b64 s[0:1], exec, s[24:25]
; %bb.40:                               ;   in Loop: Header=BB10_3 Depth=1
	v_bfe_u32 v45, v39, 16, 1
	v_add3_u32 v45, v39, v45, s28
                                        ; implicit-def: $vgpr39
; %bb.41:                               ;   in Loop: Header=BB10_3 Depth=1
	s_andn2_saveexec_b64 s[24:25], s[0:1]
; %bb.42:                               ;   in Loop: Header=BB10_3 Depth=1
	v_or_b32_e32 v45, 0x10000, v39
	v_cmp_eq_u32_sdwa s[0:1], v39, v35 src0_sel:WORD_0 src1_sel:DWORD
	v_cndmask_b32_e64 v45, v45, v39, s[0:1]
; %bb.43:                               ;   in Loop: Header=BB10_3 Depth=1
	s_or_b64 exec, exec, s[24:25]
	v_and_b32_e32 v46, 0xffff0000, v24
	s_waitcnt vmcnt(0)
	v_lshlrev_b32_e32 v39, 16, v5
	v_and_b32_e32 v24, 0xffff0000, v5
	v_fma_f32 v46, v46, v39, v24
	v_and_b32_e32 v5, 0x7f800000, v46
	v_cmp_ne_u32_e64 s[0:1], s6, v5
                                        ; implicit-def: $vgpr5
	s_and_saveexec_b64 s[24:25], s[0:1]
	s_xor_b64 s[0:1], exec, s[24:25]
; %bb.44:                               ;   in Loop: Header=BB10_3 Depth=1
	v_bfe_u32 v5, v46, 16, 1
	v_add3_u32 v5, v46, v5, s28
                                        ; implicit-def: $vgpr46
; %bb.45:                               ;   in Loop: Header=BB10_3 Depth=1
	s_andn2_saveexec_b64 s[24:25], s[0:1]
; %bb.46:                               ;   in Loop: Header=BB10_3 Depth=1
	v_or_b32_e32 v5, 0x10000, v46
	v_cmp_eq_u32_sdwa s[0:1], v46, v35 src0_sel:WORD_0 src1_sel:DWORD
	v_cndmask_b32_e64 v5, v5, v46, s[0:1]
; %bb.47:                               ;   in Loop: Header=BB10_3 Depth=1
	s_or_b64 exec, exec, s[24:25]
	v_and_b32_e32 v38, 0xffff0000, v38
	v_fma_f32 v46, v38, v39, v24
	v_and_b32_e32 v38, 0x7f800000, v46
	v_cmp_ne_u32_e64 s[0:1], s6, v38
                                        ; implicit-def: $vgpr38
	s_and_saveexec_b64 s[24:25], s[0:1]
	s_xor_b64 s[0:1], exec, s[24:25]
; %bb.48:                               ;   in Loop: Header=BB10_3 Depth=1
	v_bfe_u32 v38, v46, 16, 1
	v_add3_u32 v38, v46, v38, s28
                                        ; implicit-def: $vgpr46
; %bb.49:                               ;   in Loop: Header=BB10_3 Depth=1
	s_andn2_saveexec_b64 s[24:25], s[0:1]
; %bb.50:                               ;   in Loop: Header=BB10_3 Depth=1
	v_or_b32_e32 v38, 0x10000, v46
	v_cmp_eq_u32_sdwa s[0:1], v46, v35 src0_sel:WORD_0 src1_sel:DWORD
	v_cndmask_b32_e64 v38, v38, v46, s[0:1]
; %bb.51:                               ;   in Loop: Header=BB10_3 Depth=1
	s_or_b64 exec, exec, s[24:25]
	v_and_b32_e32 v40, 0xffff0000, v40
	v_fma_f32 v46, v40, v39, v24
	v_and_b32_e32 v40, 0x7f800000, v46
	v_cmp_ne_u32_e64 s[0:1], s6, v40
                                        ; implicit-def: $vgpr40
	s_and_saveexec_b64 s[24:25], s[0:1]
	s_xor_b64 s[0:1], exec, s[24:25]
; %bb.52:                               ;   in Loop: Header=BB10_3 Depth=1
	v_bfe_u32 v40, v46, 16, 1
	v_add3_u32 v40, v46, v40, s28
                                        ; implicit-def: $vgpr46
; %bb.53:                               ;   in Loop: Header=BB10_3 Depth=1
	s_andn2_saveexec_b64 s[24:25], s[0:1]
; %bb.54:                               ;   in Loop: Header=BB10_3 Depth=1
	v_or_b32_e32 v40, 0x10000, v46
	v_cmp_eq_u32_sdwa s[0:1], v46, v35 src0_sel:WORD_0 src1_sel:DWORD
	v_cndmask_b32_e64 v40, v40, v46, s[0:1]
; %bb.55:                               ;   in Loop: Header=BB10_3 Depth=1
	s_or_b64 exec, exec, s[24:25]
	v_and_b32_e32 v41, 0xffff0000, v41
	v_fma_f32 v46, v41, v39, v24
	v_and_b32_e32 v41, 0x7f800000, v46
	v_cmp_ne_u32_e64 s[0:1], s6, v41
                                        ; implicit-def: $vgpr41
	s_and_saveexec_b64 s[24:25], s[0:1]
	s_xor_b64 s[0:1], exec, s[24:25]
; %bb.56:                               ;   in Loop: Header=BB10_3 Depth=1
	v_bfe_u32 v41, v46, 16, 1
	v_add3_u32 v41, v46, v41, s28
                                        ; implicit-def: $vgpr46
; %bb.57:                               ;   in Loop: Header=BB10_3 Depth=1
	s_andn2_saveexec_b64 s[24:25], s[0:1]
; %bb.58:                               ;   in Loop: Header=BB10_3 Depth=1
	v_or_b32_e32 v41, 0x10000, v46
	v_cmp_eq_u32_sdwa s[0:1], v46, v35 src0_sel:WORD_0 src1_sel:DWORD
	v_cndmask_b32_e64 v41, v41, v46, s[0:1]
; %bb.59:                               ;   in Loop: Header=BB10_3 Depth=1
	s_or_b64 exec, exec, s[24:25]
	v_and_b32_e32 v42, 0xffff0000, v42
	v_fma_f32 v46, v42, v39, v24
	v_and_b32_e32 v42, 0x7f800000, v46
	v_cmp_ne_u32_e64 s[0:1], s6, v42
                                        ; implicit-def: $vgpr42
	s_and_saveexec_b64 s[24:25], s[0:1]
	s_xor_b64 s[0:1], exec, s[24:25]
; %bb.60:                               ;   in Loop: Header=BB10_3 Depth=1
	v_bfe_u32 v42, v46, 16, 1
	v_add3_u32 v42, v46, v42, s28
                                        ; implicit-def: $vgpr46
; %bb.61:                               ;   in Loop: Header=BB10_3 Depth=1
	s_andn2_saveexec_b64 s[24:25], s[0:1]
; %bb.62:                               ;   in Loop: Header=BB10_3 Depth=1
	v_or_b32_e32 v42, 0x10000, v46
	v_cmp_eq_u32_sdwa s[0:1], v46, v35 src0_sel:WORD_0 src1_sel:DWORD
	v_cndmask_b32_e64 v42, v42, v46, s[0:1]
; %bb.63:                               ;   in Loop: Header=BB10_3 Depth=1
	s_or_b64 exec, exec, s[24:25]
	v_and_b32_e32 v43, 0xffff0000, v43
	v_fma_f32 v46, v43, v39, v24
	v_and_b32_e32 v43, 0x7f800000, v46
	v_cmp_ne_u32_e64 s[0:1], s6, v43
                                        ; implicit-def: $vgpr43
	s_and_saveexec_b64 s[24:25], s[0:1]
	s_xor_b64 s[0:1], exec, s[24:25]
; %bb.64:                               ;   in Loop: Header=BB10_3 Depth=1
	v_bfe_u32 v43, v46, 16, 1
	v_add3_u32 v43, v46, v43, s28
                                        ; implicit-def: $vgpr46
; %bb.65:                               ;   in Loop: Header=BB10_3 Depth=1
	s_andn2_saveexec_b64 s[24:25], s[0:1]
; %bb.66:                               ;   in Loop: Header=BB10_3 Depth=1
	v_or_b32_e32 v43, 0x10000, v46
	v_cmp_eq_u32_sdwa s[0:1], v46, v35 src0_sel:WORD_0 src1_sel:DWORD
	v_cndmask_b32_e64 v43, v43, v46, s[0:1]
; %bb.67:                               ;   in Loop: Header=BB10_3 Depth=1
	s_or_b64 exec, exec, s[24:25]
	v_and_b32_e32 v44, 0xffff0000, v44
	v_fma_f32 v46, v44, v39, v24
	v_and_b32_e32 v44, 0x7f800000, v46
	v_cmp_ne_u32_e64 s[0:1], s6, v44
                                        ; implicit-def: $vgpr44
	s_and_saveexec_b64 s[24:25], s[0:1]
	s_xor_b64 s[0:1], exec, s[24:25]
; %bb.68:                               ;   in Loop: Header=BB10_3 Depth=1
	v_bfe_u32 v44, v46, 16, 1
	v_add3_u32 v44, v46, v44, s28
                                        ; implicit-def: $vgpr46
; %bb.69:                               ;   in Loop: Header=BB10_3 Depth=1
	s_andn2_saveexec_b64 s[24:25], s[0:1]
; %bb.70:                               ;   in Loop: Header=BB10_3 Depth=1
	v_or_b32_e32 v44, 0x10000, v46
	v_cmp_eq_u32_sdwa s[0:1], v46, v35 src0_sel:WORD_0 src1_sel:DWORD
	v_cndmask_b32_e64 v44, v44, v46, s[0:1]
; %bb.71:                               ;   in Loop: Header=BB10_3 Depth=1
	s_or_b64 exec, exec, s[24:25]
	v_and_b32_e32 v45, 0xffff0000, v45
	v_fma_f32 v46, v45, v39, v24
	v_and_b32_e32 v45, 0x7f800000, v46
	v_cmp_ne_u32_e64 s[0:1], s6, v45
                                        ; implicit-def: $vgpr45
	s_and_saveexec_b64 s[24:25], s[0:1]
	s_xor_b64 s[0:1], exec, s[24:25]
; %bb.72:                               ;   in Loop: Header=BB10_3 Depth=1
	v_bfe_u32 v45, v46, 16, 1
	v_add3_u32 v45, v46, v45, s28
                                        ; implicit-def: $vgpr46
; %bb.73:                               ;   in Loop: Header=BB10_3 Depth=1
	s_andn2_saveexec_b64 s[24:25], s[0:1]
; %bb.74:                               ;   in Loop: Header=BB10_3 Depth=1
	v_or_b32_e32 v45, 0x10000, v46
	v_cmp_eq_u32_sdwa s[0:1], v46, v35 src0_sel:WORD_0 src1_sel:DWORD
	v_cndmask_b32_e64 v45, v45, v46, s[0:1]
; %bb.75:                               ;   in Loop: Header=BB10_3 Depth=1
	s_or_b64 exec, exec, s[24:25]
	v_lshrrev_b32_e32 v47, 4, v25
	;;#ASMSTART
	v_and_or_b32 v46, v25, v36, v37
	;;#ASMEND
	;;#ASMSTART
	v_and_or_b32 v48, v47, v36, v37
	;;#ASMEND
	v_lshrrev_b32_e32 v47, 8, v25
	v_lshrrev_b32_e32 v25, 12, v25
	;;#ASMSTART
	v_and_or_b32 v50, v47, v36, v37
	;;#ASMEND
	;;#ASMSTART
	v_and_or_b32 v52, v25, v36, v37
	;;#ASMEND
	v_lshlrev_b32_e32 v25, 16, v46
	v_add_f32_e32 v47, 0xc3080000, v25
	v_and_b32_e32 v25, 0x7f800000, v47
	v_cmp_ne_u32_e64 s[0:1], s6, v25
                                        ; implicit-def: $vgpr25
	s_and_saveexec_b64 s[24:25], s[0:1]
	s_xor_b64 s[0:1], exec, s[24:25]
; %bb.76:                               ;   in Loop: Header=BB10_3 Depth=1
	v_bfe_u32 v25, v47, 16, 1
	v_add3_u32 v25, v47, v25, s28
                                        ; implicit-def: $vgpr47
; %bb.77:                               ;   in Loop: Header=BB10_3 Depth=1
	s_andn2_saveexec_b64 s[24:25], s[0:1]
; %bb.78:                               ;   in Loop: Header=BB10_3 Depth=1
	v_or_b32_e32 v25, 0x10000, v47
	v_cmp_eq_u32_sdwa s[0:1], v47, v35 src0_sel:WORD_0 src1_sel:DWORD
	v_cndmask_b32_e64 v25, v25, v47, s[0:1]
; %bb.79:                               ;   in Loop: Header=BB10_3 Depth=1
	s_or_b64 exec, exec, s[24:25]
	v_and_b32_e32 v46, 0xffff0000, v46
	v_add_f32_e32 v47, 0xc3080000, v46
	v_and_b32_e32 v46, 0x7f800000, v47
	v_cmp_ne_u32_e64 s[0:1], s6, v46
                                        ; implicit-def: $vgpr46
	s_and_saveexec_b64 s[24:25], s[0:1]
	s_xor_b64 s[0:1], exec, s[24:25]
; %bb.80:                               ;   in Loop: Header=BB10_3 Depth=1
	v_bfe_u32 v46, v47, 16, 1
	v_add3_u32 v46, v47, v46, s28
                                        ; implicit-def: $vgpr47
; %bb.81:                               ;   in Loop: Header=BB10_3 Depth=1
	s_andn2_saveexec_b64 s[24:25], s[0:1]
; %bb.82:                               ;   in Loop: Header=BB10_3 Depth=1
	v_or_b32_e32 v46, 0x10000, v47
	v_cmp_eq_u32_sdwa s[0:1], v47, v35 src0_sel:WORD_0 src1_sel:DWORD
	v_cndmask_b32_e64 v46, v46, v47, s[0:1]
; %bb.83:                               ;   in Loop: Header=BB10_3 Depth=1
	s_or_b64 exec, exec, s[24:25]
	v_lshlrev_b32_e32 v47, 16, v48
	v_add_f32_e32 v49, 0xc3080000, v47
	v_and_b32_e32 v47, 0x7f800000, v49
	v_cmp_ne_u32_e64 s[0:1], s6, v47
                                        ; implicit-def: $vgpr47
	s_and_saveexec_b64 s[24:25], s[0:1]
	s_xor_b64 s[0:1], exec, s[24:25]
; %bb.84:                               ;   in Loop: Header=BB10_3 Depth=1
	v_bfe_u32 v47, v49, 16, 1
	v_add3_u32 v47, v49, v47, s28
                                        ; implicit-def: $vgpr49
; %bb.85:                               ;   in Loop: Header=BB10_3 Depth=1
	s_andn2_saveexec_b64 s[24:25], s[0:1]
; %bb.86:                               ;   in Loop: Header=BB10_3 Depth=1
	v_or_b32_e32 v47, 0x10000, v49
	v_cmp_eq_u32_sdwa s[0:1], v49, v35 src0_sel:WORD_0 src1_sel:DWORD
	v_cndmask_b32_e64 v47, v47, v49, s[0:1]
; %bb.87:                               ;   in Loop: Header=BB10_3 Depth=1
	s_or_b64 exec, exec, s[24:25]
	v_and_b32_e32 v48, 0xffff0000, v48
	v_add_f32_e32 v49, 0xc3080000, v48
	v_and_b32_e32 v48, 0x7f800000, v49
	v_cmp_ne_u32_e64 s[0:1], s6, v48
                                        ; implicit-def: $vgpr48
	s_and_saveexec_b64 s[24:25], s[0:1]
	s_xor_b64 s[0:1], exec, s[24:25]
; %bb.88:                               ;   in Loop: Header=BB10_3 Depth=1
	v_bfe_u32 v48, v49, 16, 1
	v_add3_u32 v48, v49, v48, s28
                                        ; implicit-def: $vgpr49
; %bb.89:                               ;   in Loop: Header=BB10_3 Depth=1
	s_andn2_saveexec_b64 s[24:25], s[0:1]
; %bb.90:                               ;   in Loop: Header=BB10_3 Depth=1
	v_or_b32_e32 v48, 0x10000, v49
	v_cmp_eq_u32_sdwa s[0:1], v49, v35 src0_sel:WORD_0 src1_sel:DWORD
	v_cndmask_b32_e64 v48, v48, v49, s[0:1]
; %bb.91:                               ;   in Loop: Header=BB10_3 Depth=1
	s_or_b64 exec, exec, s[24:25]
	v_lshlrev_b32_e32 v49, 16, v50
	v_add_f32_e32 v51, 0xc3080000, v49
	v_and_b32_e32 v49, 0x7f800000, v51
	v_cmp_ne_u32_e64 s[0:1], s6, v49
                                        ; implicit-def: $vgpr49
	s_and_saveexec_b64 s[24:25], s[0:1]
	s_xor_b64 s[0:1], exec, s[24:25]
; %bb.92:                               ;   in Loop: Header=BB10_3 Depth=1
	v_bfe_u32 v49, v51, 16, 1
	v_add3_u32 v49, v51, v49, s28
                                        ; implicit-def: $vgpr51
; %bb.93:                               ;   in Loop: Header=BB10_3 Depth=1
	s_andn2_saveexec_b64 s[24:25], s[0:1]
; %bb.94:                               ;   in Loop: Header=BB10_3 Depth=1
	v_or_b32_e32 v49, 0x10000, v51
	v_cmp_eq_u32_sdwa s[0:1], v51, v35 src0_sel:WORD_0 src1_sel:DWORD
	v_cndmask_b32_e64 v49, v49, v51, s[0:1]
; %bb.95:                               ;   in Loop: Header=BB10_3 Depth=1
	s_or_b64 exec, exec, s[24:25]
	v_and_b32_e32 v50, 0xffff0000, v50
	v_add_f32_e32 v51, 0xc3080000, v50
	v_and_b32_e32 v50, 0x7f800000, v51
	v_cmp_ne_u32_e64 s[0:1], s6, v50
                                        ; implicit-def: $vgpr50
	s_and_saveexec_b64 s[24:25], s[0:1]
	s_xor_b64 s[0:1], exec, s[24:25]
; %bb.96:                               ;   in Loop: Header=BB10_3 Depth=1
	v_bfe_u32 v50, v51, 16, 1
	v_add3_u32 v50, v51, v50, s28
                                        ; implicit-def: $vgpr51
; %bb.97:                               ;   in Loop: Header=BB10_3 Depth=1
	s_andn2_saveexec_b64 s[24:25], s[0:1]
; %bb.98:                               ;   in Loop: Header=BB10_3 Depth=1
	v_or_b32_e32 v50, 0x10000, v51
	v_cmp_eq_u32_sdwa s[0:1], v51, v35 src0_sel:WORD_0 src1_sel:DWORD
	v_cndmask_b32_e64 v50, v50, v51, s[0:1]
; %bb.99:                               ;   in Loop: Header=BB10_3 Depth=1
	s_or_b64 exec, exec, s[24:25]
	v_lshlrev_b32_e32 v51, 16, v52
	v_add_f32_e32 v53, 0xc3080000, v51
	v_and_b32_e32 v51, 0x7f800000, v53
	v_cmp_ne_u32_e64 s[0:1], s6, v51
                                        ; implicit-def: $vgpr51
	s_and_saveexec_b64 s[24:25], s[0:1]
	s_xor_b64 s[0:1], exec, s[24:25]
; %bb.100:                              ;   in Loop: Header=BB10_3 Depth=1
	v_bfe_u32 v51, v53, 16, 1
	v_add3_u32 v51, v53, v51, s28
                                        ; implicit-def: $vgpr53
; %bb.101:                              ;   in Loop: Header=BB10_3 Depth=1
	s_andn2_saveexec_b64 s[24:25], s[0:1]
; %bb.102:                              ;   in Loop: Header=BB10_3 Depth=1
	v_or_b32_e32 v51, 0x10000, v53
	v_cmp_eq_u32_sdwa s[0:1], v53, v35 src0_sel:WORD_0 src1_sel:DWORD
	v_cndmask_b32_e64 v51, v51, v53, s[0:1]
; %bb.103:                              ;   in Loop: Header=BB10_3 Depth=1
	s_or_b64 exec, exec, s[24:25]
	v_and_b32_e32 v52, 0xffff0000, v52
	v_add_f32_e32 v53, 0xc3080000, v52
	v_and_b32_e32 v52, 0x7f800000, v53
	v_cmp_ne_u32_e64 s[0:1], s6, v52
                                        ; implicit-def: $vgpr52
	s_and_saveexec_b64 s[24:25], s[0:1]
	s_xor_b64 s[0:1], exec, s[24:25]
; %bb.104:                              ;   in Loop: Header=BB10_3 Depth=1
	v_bfe_u32 v52, v53, 16, 1
	v_add3_u32 v52, v53, v52, s28
                                        ; implicit-def: $vgpr53
; %bb.105:                              ;   in Loop: Header=BB10_3 Depth=1
	s_andn2_saveexec_b64 s[24:25], s[0:1]
; %bb.106:                              ;   in Loop: Header=BB10_3 Depth=1
	v_or_b32_e32 v52, 0x10000, v53
	v_cmp_eq_u32_sdwa s[0:1], v53, v35 src0_sel:WORD_0 src1_sel:DWORD
	v_cndmask_b32_e64 v52, v52, v53, s[0:1]
; %bb.107:                              ;   in Loop: Header=BB10_3 Depth=1
	s_or_b64 exec, exec, s[24:25]
	v_and_b32_e32 v25, 0xffff0000, v25
	v_fma_f32 v53, v25, v39, v24
	v_and_b32_e32 v25, 0x7f800000, v53
	v_cmp_ne_u32_e64 s[0:1], s6, v25
                                        ; implicit-def: $vgpr25
	s_and_saveexec_b64 s[24:25], s[0:1]
	s_xor_b64 s[0:1], exec, s[24:25]
; %bb.108:                              ;   in Loop: Header=BB10_3 Depth=1
	v_bfe_u32 v25, v53, 16, 1
	v_add3_u32 v25, v53, v25, s28
                                        ; implicit-def: $vgpr53
; %bb.109:                              ;   in Loop: Header=BB10_3 Depth=1
	s_andn2_saveexec_b64 s[24:25], s[0:1]
; %bb.110:                              ;   in Loop: Header=BB10_3 Depth=1
	v_or_b32_e32 v25, 0x10000, v53
	v_cmp_eq_u32_sdwa s[0:1], v53, v35 src0_sel:WORD_0 src1_sel:DWORD
	v_cndmask_b32_e64 v25, v25, v53, s[0:1]
; %bb.111:                              ;   in Loop: Header=BB10_3 Depth=1
	s_or_b64 exec, exec, s[24:25]
	v_and_b32_e32 v46, 0xffff0000, v46
	v_fma_f32 v53, v46, v39, v24
	v_and_b32_e32 v46, 0x7f800000, v53
	v_cmp_ne_u32_e64 s[0:1], s6, v46
                                        ; implicit-def: $vgpr46
	s_and_saveexec_b64 s[24:25], s[0:1]
	s_xor_b64 s[0:1], exec, s[24:25]
; %bb.112:                              ;   in Loop: Header=BB10_3 Depth=1
	v_bfe_u32 v46, v53, 16, 1
	v_add3_u32 v46, v53, v46, s28
                                        ; implicit-def: $vgpr53
; %bb.113:                              ;   in Loop: Header=BB10_3 Depth=1
	s_andn2_saveexec_b64 s[24:25], s[0:1]
; %bb.114:                              ;   in Loop: Header=BB10_3 Depth=1
	v_or_b32_e32 v46, 0x10000, v53
	v_cmp_eq_u32_sdwa s[0:1], v53, v35 src0_sel:WORD_0 src1_sel:DWORD
	v_cndmask_b32_e64 v46, v46, v53, s[0:1]
; %bb.115:                              ;   in Loop: Header=BB10_3 Depth=1
	s_or_b64 exec, exec, s[24:25]
	v_and_b32_e32 v47, 0xffff0000, v47
	v_fma_f32 v53, v47, v39, v24
	v_and_b32_e32 v47, 0x7f800000, v53
	v_cmp_ne_u32_e64 s[0:1], s6, v47
                                        ; implicit-def: $vgpr47
	s_and_saveexec_b64 s[24:25], s[0:1]
	s_xor_b64 s[0:1], exec, s[24:25]
; %bb.116:                              ;   in Loop: Header=BB10_3 Depth=1
	v_bfe_u32 v47, v53, 16, 1
	v_add3_u32 v47, v53, v47, s28
                                        ; implicit-def: $vgpr53
; %bb.117:                              ;   in Loop: Header=BB10_3 Depth=1
	s_andn2_saveexec_b64 s[24:25], s[0:1]
; %bb.118:                              ;   in Loop: Header=BB10_3 Depth=1
	v_or_b32_e32 v47, 0x10000, v53
	v_cmp_eq_u32_sdwa s[0:1], v53, v35 src0_sel:WORD_0 src1_sel:DWORD
	v_cndmask_b32_e64 v47, v47, v53, s[0:1]
; %bb.119:                              ;   in Loop: Header=BB10_3 Depth=1
	s_or_b64 exec, exec, s[24:25]
	v_and_b32_e32 v48, 0xffff0000, v48
	v_fma_f32 v53, v48, v39, v24
	v_and_b32_e32 v48, 0x7f800000, v53
	v_cmp_ne_u32_e64 s[0:1], s6, v48
                                        ; implicit-def: $vgpr48
	s_and_saveexec_b64 s[24:25], s[0:1]
	s_xor_b64 s[0:1], exec, s[24:25]
; %bb.120:                              ;   in Loop: Header=BB10_3 Depth=1
	v_bfe_u32 v48, v53, 16, 1
	v_add3_u32 v48, v53, v48, s28
                                        ; implicit-def: $vgpr53
; %bb.121:                              ;   in Loop: Header=BB10_3 Depth=1
	s_andn2_saveexec_b64 s[24:25], s[0:1]
; %bb.122:                              ;   in Loop: Header=BB10_3 Depth=1
	v_or_b32_e32 v48, 0x10000, v53
	v_cmp_eq_u32_sdwa s[0:1], v53, v35 src0_sel:WORD_0 src1_sel:DWORD
	v_cndmask_b32_e64 v48, v48, v53, s[0:1]
; %bb.123:                              ;   in Loop: Header=BB10_3 Depth=1
	s_or_b64 exec, exec, s[24:25]
	v_and_b32_e32 v49, 0xffff0000, v49
	v_fma_f32 v53, v49, v39, v24
	v_and_b32_e32 v49, 0x7f800000, v53
	v_cmp_ne_u32_e64 s[0:1], s6, v49
                                        ; implicit-def: $vgpr49
	s_and_saveexec_b64 s[24:25], s[0:1]
	s_xor_b64 s[0:1], exec, s[24:25]
; %bb.124:                              ;   in Loop: Header=BB10_3 Depth=1
	v_bfe_u32 v49, v53, 16, 1
	v_add3_u32 v49, v53, v49, s28
                                        ; implicit-def: $vgpr53
; %bb.125:                              ;   in Loop: Header=BB10_3 Depth=1
	s_andn2_saveexec_b64 s[24:25], s[0:1]
; %bb.126:                              ;   in Loop: Header=BB10_3 Depth=1
	v_or_b32_e32 v49, 0x10000, v53
	v_cmp_eq_u32_sdwa s[0:1], v53, v35 src0_sel:WORD_0 src1_sel:DWORD
	v_cndmask_b32_e64 v49, v49, v53, s[0:1]
; %bb.127:                              ;   in Loop: Header=BB10_3 Depth=1
	s_or_b64 exec, exec, s[24:25]
	v_and_b32_e32 v50, 0xffff0000, v50
	v_fma_f32 v53, v50, v39, v24
	v_and_b32_e32 v50, 0x7f800000, v53
	v_cmp_ne_u32_e64 s[0:1], s6, v50
                                        ; implicit-def: $vgpr50
	s_and_saveexec_b64 s[24:25], s[0:1]
	s_xor_b64 s[0:1], exec, s[24:25]
; %bb.128:                              ;   in Loop: Header=BB10_3 Depth=1
	v_bfe_u32 v50, v53, 16, 1
	v_add3_u32 v50, v53, v50, s28
                                        ; implicit-def: $vgpr53
; %bb.129:                              ;   in Loop: Header=BB10_3 Depth=1
	s_andn2_saveexec_b64 s[24:25], s[0:1]
; %bb.130:                              ;   in Loop: Header=BB10_3 Depth=1
	v_or_b32_e32 v50, 0x10000, v53
	v_cmp_eq_u32_sdwa s[0:1], v53, v35 src0_sel:WORD_0 src1_sel:DWORD
	v_cndmask_b32_e64 v50, v50, v53, s[0:1]
; %bb.131:                              ;   in Loop: Header=BB10_3 Depth=1
	s_or_b64 exec, exec, s[24:25]
	v_and_b32_e32 v51, 0xffff0000, v51
	v_fma_f32 v53, v51, v39, v24
	v_and_b32_e32 v51, 0x7f800000, v53
	v_cmp_ne_u32_e64 s[0:1], s6, v51
                                        ; implicit-def: $vgpr51
	s_and_saveexec_b64 s[24:25], s[0:1]
	s_xor_b64 s[0:1], exec, s[24:25]
; %bb.132:                              ;   in Loop: Header=BB10_3 Depth=1
	v_bfe_u32 v51, v53, 16, 1
	v_add3_u32 v51, v53, v51, s28
                                        ; implicit-def: $vgpr53
; %bb.133:                              ;   in Loop: Header=BB10_3 Depth=1
	s_andn2_saveexec_b64 s[24:25], s[0:1]
; %bb.134:                              ;   in Loop: Header=BB10_3 Depth=1
	v_or_b32_e32 v51, 0x10000, v53
	v_cmp_eq_u32_sdwa s[0:1], v53, v35 src0_sel:WORD_0 src1_sel:DWORD
	v_cndmask_b32_e64 v51, v51, v53, s[0:1]
; %bb.135:                              ;   in Loop: Header=BB10_3 Depth=1
	s_or_b64 exec, exec, s[24:25]
	v_and_b32_e32 v52, 0xffff0000, v52
	v_fma_f32 v53, v52, v39, v24
	v_and_b32_e32 v52, 0x7f800000, v53
	v_cmp_ne_u32_e64 s[0:1], s6, v52
                                        ; implicit-def: $vgpr52
	s_and_saveexec_b64 s[24:25], s[0:1]
	s_xor_b64 s[0:1], exec, s[24:25]
; %bb.136:                              ;   in Loop: Header=BB10_3 Depth=1
	v_bfe_u32 v52, v53, 16, 1
	v_add3_u32 v52, v53, v52, s28
                                        ; implicit-def: $vgpr53
; %bb.137:                              ;   in Loop: Header=BB10_3 Depth=1
	s_andn2_saveexec_b64 s[24:25], s[0:1]
; %bb.138:                              ;   in Loop: Header=BB10_3 Depth=1
	v_or_b32_e32 v52, 0x10000, v53
	v_cmp_eq_u32_sdwa s[0:1], v53, v35 src0_sel:WORD_0 src1_sel:DWORD
	v_cndmask_b32_e64 v52, v52, v53, s[0:1]
; %bb.139:                              ;   in Loop: Header=BB10_3 Depth=1
	s_or_b64 exec, exec, s[24:25]
	v_lshrrev_b32_e32 v54, 4, v22
	;;#ASMSTART
	v_and_or_b32 v53, v22, v36, v37
	;;#ASMEND
	;;#ASMSTART
	v_and_or_b32 v55, v54, v36, v37
	;;#ASMEND
	v_lshrrev_b32_e32 v54, 8, v22
	v_lshrrev_b32_e32 v22, 12, v22
	;;#ASMSTART
	v_and_or_b32 v57, v54, v36, v37
	;;#ASMEND
	;;#ASMSTART
	v_and_or_b32 v59, v22, v36, v37
	;;#ASMEND
	v_lshlrev_b32_e32 v22, 16, v53
	v_add_f32_e32 v54, 0xc3080000, v22
	v_and_b32_e32 v22, 0x7f800000, v54
	v_cmp_ne_u32_e64 s[0:1], s6, v22
                                        ; implicit-def: $vgpr22
	s_and_saveexec_b64 s[24:25], s[0:1]
	s_xor_b64 s[0:1], exec, s[24:25]
; %bb.140:                              ;   in Loop: Header=BB10_3 Depth=1
	v_bfe_u32 v22, v54, 16, 1
	v_add3_u32 v22, v54, v22, s28
                                        ; implicit-def: $vgpr54
; %bb.141:                              ;   in Loop: Header=BB10_3 Depth=1
	s_andn2_saveexec_b64 s[24:25], s[0:1]
; %bb.142:                              ;   in Loop: Header=BB10_3 Depth=1
	v_or_b32_e32 v22, 0x10000, v54
	v_cmp_eq_u32_sdwa s[0:1], v54, v35 src0_sel:WORD_0 src1_sel:DWORD
	v_cndmask_b32_e64 v22, v22, v54, s[0:1]
; %bb.143:                              ;   in Loop: Header=BB10_3 Depth=1
	s_or_b64 exec, exec, s[24:25]
	v_and_b32_e32 v53, 0xffff0000, v53
	v_add_f32_e32 v54, 0xc3080000, v53
	v_and_b32_e32 v53, 0x7f800000, v54
	v_cmp_ne_u32_e64 s[0:1], s6, v53
                                        ; implicit-def: $vgpr53
	s_and_saveexec_b64 s[24:25], s[0:1]
	s_xor_b64 s[0:1], exec, s[24:25]
; %bb.144:                              ;   in Loop: Header=BB10_3 Depth=1
	v_bfe_u32 v53, v54, 16, 1
	v_add3_u32 v53, v54, v53, s28
                                        ; implicit-def: $vgpr54
; %bb.145:                              ;   in Loop: Header=BB10_3 Depth=1
	s_andn2_saveexec_b64 s[24:25], s[0:1]
; %bb.146:                              ;   in Loop: Header=BB10_3 Depth=1
	v_or_b32_e32 v53, 0x10000, v54
	v_cmp_eq_u32_sdwa s[0:1], v54, v35 src0_sel:WORD_0 src1_sel:DWORD
	v_cndmask_b32_e64 v53, v53, v54, s[0:1]
; %bb.147:                              ;   in Loop: Header=BB10_3 Depth=1
	s_or_b64 exec, exec, s[24:25]
	v_lshlrev_b32_e32 v54, 16, v55
	v_add_f32_e32 v56, 0xc3080000, v54
	v_and_b32_e32 v54, 0x7f800000, v56
	v_cmp_ne_u32_e64 s[0:1], s6, v54
                                        ; implicit-def: $vgpr54
	s_and_saveexec_b64 s[24:25], s[0:1]
	s_xor_b64 s[0:1], exec, s[24:25]
; %bb.148:                              ;   in Loop: Header=BB10_3 Depth=1
	v_bfe_u32 v54, v56, 16, 1
	v_add3_u32 v54, v56, v54, s28
                                        ; implicit-def: $vgpr56
; %bb.149:                              ;   in Loop: Header=BB10_3 Depth=1
	s_andn2_saveexec_b64 s[24:25], s[0:1]
; %bb.150:                              ;   in Loop: Header=BB10_3 Depth=1
	v_or_b32_e32 v54, 0x10000, v56
	v_cmp_eq_u32_sdwa s[0:1], v56, v35 src0_sel:WORD_0 src1_sel:DWORD
	v_cndmask_b32_e64 v54, v54, v56, s[0:1]
; %bb.151:                              ;   in Loop: Header=BB10_3 Depth=1
	s_or_b64 exec, exec, s[24:25]
	v_and_b32_e32 v55, 0xffff0000, v55
	v_add_f32_e32 v56, 0xc3080000, v55
	v_and_b32_e32 v55, 0x7f800000, v56
	v_cmp_ne_u32_e64 s[0:1], s6, v55
                                        ; implicit-def: $vgpr55
	s_and_saveexec_b64 s[24:25], s[0:1]
	s_xor_b64 s[0:1], exec, s[24:25]
; %bb.152:                              ;   in Loop: Header=BB10_3 Depth=1
	v_bfe_u32 v55, v56, 16, 1
	v_add3_u32 v55, v56, v55, s28
                                        ; implicit-def: $vgpr56
; %bb.153:                              ;   in Loop: Header=BB10_3 Depth=1
	s_andn2_saveexec_b64 s[24:25], s[0:1]
; %bb.154:                              ;   in Loop: Header=BB10_3 Depth=1
	v_or_b32_e32 v55, 0x10000, v56
	v_cmp_eq_u32_sdwa s[0:1], v56, v35 src0_sel:WORD_0 src1_sel:DWORD
	v_cndmask_b32_e64 v55, v55, v56, s[0:1]
; %bb.155:                              ;   in Loop: Header=BB10_3 Depth=1
	s_or_b64 exec, exec, s[24:25]
	v_lshlrev_b32_e32 v56, 16, v57
	v_add_f32_e32 v58, 0xc3080000, v56
	v_and_b32_e32 v56, 0x7f800000, v58
	v_cmp_ne_u32_e64 s[0:1], s6, v56
                                        ; implicit-def: $vgpr56
	s_and_saveexec_b64 s[24:25], s[0:1]
	s_xor_b64 s[0:1], exec, s[24:25]
; %bb.156:                              ;   in Loop: Header=BB10_3 Depth=1
	v_bfe_u32 v56, v58, 16, 1
	v_add3_u32 v56, v58, v56, s28
                                        ; implicit-def: $vgpr58
; %bb.157:                              ;   in Loop: Header=BB10_3 Depth=1
	s_andn2_saveexec_b64 s[24:25], s[0:1]
; %bb.158:                              ;   in Loop: Header=BB10_3 Depth=1
	v_or_b32_e32 v56, 0x10000, v58
	v_cmp_eq_u32_sdwa s[0:1], v58, v35 src0_sel:WORD_0 src1_sel:DWORD
	v_cndmask_b32_e64 v56, v56, v58, s[0:1]
; %bb.159:                              ;   in Loop: Header=BB10_3 Depth=1
	s_or_b64 exec, exec, s[24:25]
	v_and_b32_e32 v57, 0xffff0000, v57
	v_add_f32_e32 v58, 0xc3080000, v57
	v_and_b32_e32 v57, 0x7f800000, v58
	v_cmp_ne_u32_e64 s[0:1], s6, v57
                                        ; implicit-def: $vgpr57
	s_and_saveexec_b64 s[24:25], s[0:1]
	s_xor_b64 s[0:1], exec, s[24:25]
; %bb.160:                              ;   in Loop: Header=BB10_3 Depth=1
	v_bfe_u32 v57, v58, 16, 1
	v_add3_u32 v57, v58, v57, s28
                                        ; implicit-def: $vgpr58
; %bb.161:                              ;   in Loop: Header=BB10_3 Depth=1
	s_andn2_saveexec_b64 s[24:25], s[0:1]
; %bb.162:                              ;   in Loop: Header=BB10_3 Depth=1
	v_or_b32_e32 v57, 0x10000, v58
	v_cmp_eq_u32_sdwa s[0:1], v58, v35 src0_sel:WORD_0 src1_sel:DWORD
	v_cndmask_b32_e64 v57, v57, v58, s[0:1]
; %bb.163:                              ;   in Loop: Header=BB10_3 Depth=1
	s_or_b64 exec, exec, s[24:25]
	v_lshlrev_b32_e32 v58, 16, v59
	v_add_f32_e32 v60, 0xc3080000, v58
	v_and_b32_e32 v58, 0x7f800000, v60
	v_cmp_ne_u32_e64 s[0:1], s6, v58
                                        ; implicit-def: $vgpr58
	s_and_saveexec_b64 s[24:25], s[0:1]
	s_xor_b64 s[0:1], exec, s[24:25]
; %bb.164:                              ;   in Loop: Header=BB10_3 Depth=1
	v_bfe_u32 v58, v60, 16, 1
	v_add3_u32 v58, v60, v58, s28
                                        ; implicit-def: $vgpr60
; %bb.165:                              ;   in Loop: Header=BB10_3 Depth=1
	s_andn2_saveexec_b64 s[24:25], s[0:1]
; %bb.166:                              ;   in Loop: Header=BB10_3 Depth=1
	v_or_b32_e32 v58, 0x10000, v60
	v_cmp_eq_u32_sdwa s[0:1], v60, v35 src0_sel:WORD_0 src1_sel:DWORD
	v_cndmask_b32_e64 v58, v58, v60, s[0:1]
; %bb.167:                              ;   in Loop: Header=BB10_3 Depth=1
	s_or_b64 exec, exec, s[24:25]
	v_and_b32_e32 v59, 0xffff0000, v59
	v_add_f32_e32 v60, 0xc3080000, v59
	v_and_b32_e32 v59, 0x7f800000, v60
	v_cmp_ne_u32_e64 s[0:1], s6, v59
                                        ; implicit-def: $vgpr59
	s_and_saveexec_b64 s[24:25], s[0:1]
	s_xor_b64 s[0:1], exec, s[24:25]
; %bb.168:                              ;   in Loop: Header=BB10_3 Depth=1
	v_bfe_u32 v59, v60, 16, 1
	v_add3_u32 v59, v60, v59, s28
                                        ; implicit-def: $vgpr60
; %bb.169:                              ;   in Loop: Header=BB10_3 Depth=1
	s_andn2_saveexec_b64 s[24:25], s[0:1]
; %bb.170:                              ;   in Loop: Header=BB10_3 Depth=1
	v_or_b32_e32 v59, 0x10000, v60
	v_cmp_eq_u32_sdwa s[0:1], v60, v35 src0_sel:WORD_0 src1_sel:DWORD
	v_cndmask_b32_e64 v59, v59, v60, s[0:1]
; %bb.171:                              ;   in Loop: Header=BB10_3 Depth=1
	s_or_b64 exec, exec, s[24:25]
	v_and_b32_e32 v22, 0xffff0000, v22
	v_fma_f32 v60, v22, v39, v24
	v_and_b32_e32 v22, 0x7f800000, v60
	v_cmp_ne_u32_e64 s[0:1], s6, v22
                                        ; implicit-def: $vgpr22
	s_and_saveexec_b64 s[24:25], s[0:1]
	s_xor_b64 s[0:1], exec, s[24:25]
; %bb.172:                              ;   in Loop: Header=BB10_3 Depth=1
	v_bfe_u32 v22, v60, 16, 1
	v_add3_u32 v22, v60, v22, s28
                                        ; implicit-def: $vgpr60
; %bb.173:                              ;   in Loop: Header=BB10_3 Depth=1
	s_andn2_saveexec_b64 s[24:25], s[0:1]
; %bb.174:                              ;   in Loop: Header=BB10_3 Depth=1
	v_or_b32_e32 v22, 0x10000, v60
	v_cmp_eq_u32_sdwa s[0:1], v60, v35 src0_sel:WORD_0 src1_sel:DWORD
	v_cndmask_b32_e64 v22, v22, v60, s[0:1]
; %bb.175:                              ;   in Loop: Header=BB10_3 Depth=1
	s_or_b64 exec, exec, s[24:25]
	v_and_b32_e32 v53, 0xffff0000, v53
	v_fma_f32 v60, v53, v39, v24
	v_and_b32_e32 v53, 0x7f800000, v60
	v_cmp_ne_u32_e64 s[0:1], s6, v53
                                        ; implicit-def: $vgpr53
	s_and_saveexec_b64 s[24:25], s[0:1]
	s_xor_b64 s[0:1], exec, s[24:25]
; %bb.176:                              ;   in Loop: Header=BB10_3 Depth=1
	v_bfe_u32 v53, v60, 16, 1
	v_add3_u32 v53, v60, v53, s28
                                        ; implicit-def: $vgpr60
; %bb.177:                              ;   in Loop: Header=BB10_3 Depth=1
	s_andn2_saveexec_b64 s[24:25], s[0:1]
; %bb.178:                              ;   in Loop: Header=BB10_3 Depth=1
	v_or_b32_e32 v53, 0x10000, v60
	v_cmp_eq_u32_sdwa s[0:1], v60, v35 src0_sel:WORD_0 src1_sel:DWORD
	v_cndmask_b32_e64 v53, v53, v60, s[0:1]
; %bb.179:                              ;   in Loop: Header=BB10_3 Depth=1
	s_or_b64 exec, exec, s[24:25]
	v_and_b32_e32 v54, 0xffff0000, v54
	v_fma_f32 v60, v54, v39, v24
	v_and_b32_e32 v54, 0x7f800000, v60
	v_cmp_ne_u32_e64 s[0:1], s6, v54
                                        ; implicit-def: $vgpr54
	s_and_saveexec_b64 s[24:25], s[0:1]
	s_xor_b64 s[0:1], exec, s[24:25]
; %bb.180:                              ;   in Loop: Header=BB10_3 Depth=1
	v_bfe_u32 v54, v60, 16, 1
	v_add3_u32 v54, v60, v54, s28
                                        ; implicit-def: $vgpr60
; %bb.181:                              ;   in Loop: Header=BB10_3 Depth=1
	s_andn2_saveexec_b64 s[24:25], s[0:1]
; %bb.182:                              ;   in Loop: Header=BB10_3 Depth=1
	v_or_b32_e32 v54, 0x10000, v60
	v_cmp_eq_u32_sdwa s[0:1], v60, v35 src0_sel:WORD_0 src1_sel:DWORD
	v_cndmask_b32_e64 v54, v54, v60, s[0:1]
; %bb.183:                              ;   in Loop: Header=BB10_3 Depth=1
	s_or_b64 exec, exec, s[24:25]
	v_and_b32_e32 v55, 0xffff0000, v55
	v_fma_f32 v60, v55, v39, v24
	v_and_b32_e32 v55, 0x7f800000, v60
	v_cmp_ne_u32_e64 s[0:1], s6, v55
                                        ; implicit-def: $vgpr55
	s_and_saveexec_b64 s[24:25], s[0:1]
	s_xor_b64 s[0:1], exec, s[24:25]
; %bb.184:                              ;   in Loop: Header=BB10_3 Depth=1
	v_bfe_u32 v55, v60, 16, 1
	v_add3_u32 v55, v60, v55, s28
                                        ; implicit-def: $vgpr60
; %bb.185:                              ;   in Loop: Header=BB10_3 Depth=1
	s_andn2_saveexec_b64 s[24:25], s[0:1]
; %bb.186:                              ;   in Loop: Header=BB10_3 Depth=1
	v_or_b32_e32 v55, 0x10000, v60
	v_cmp_eq_u32_sdwa s[0:1], v60, v35 src0_sel:WORD_0 src1_sel:DWORD
	v_cndmask_b32_e64 v55, v55, v60, s[0:1]
; %bb.187:                              ;   in Loop: Header=BB10_3 Depth=1
	s_or_b64 exec, exec, s[24:25]
	v_and_b32_e32 v56, 0xffff0000, v56
	v_fma_f32 v60, v56, v39, v24
	v_and_b32_e32 v56, 0x7f800000, v60
	v_cmp_ne_u32_e64 s[0:1], s6, v56
                                        ; implicit-def: $vgpr56
	s_and_saveexec_b64 s[24:25], s[0:1]
	s_xor_b64 s[0:1], exec, s[24:25]
; %bb.188:                              ;   in Loop: Header=BB10_3 Depth=1
	v_bfe_u32 v56, v60, 16, 1
	v_add3_u32 v56, v60, v56, s28
                                        ; implicit-def: $vgpr60
; %bb.189:                              ;   in Loop: Header=BB10_3 Depth=1
	s_andn2_saveexec_b64 s[24:25], s[0:1]
; %bb.190:                              ;   in Loop: Header=BB10_3 Depth=1
	v_or_b32_e32 v56, 0x10000, v60
	v_cmp_eq_u32_sdwa s[0:1], v60, v35 src0_sel:WORD_0 src1_sel:DWORD
	v_cndmask_b32_e64 v56, v56, v60, s[0:1]
; %bb.191:                              ;   in Loop: Header=BB10_3 Depth=1
	s_or_b64 exec, exec, s[24:25]
	v_and_b32_e32 v57, 0xffff0000, v57
	v_fma_f32 v60, v57, v39, v24
	v_and_b32_e32 v57, 0x7f800000, v60
	v_cmp_ne_u32_e64 s[0:1], s6, v57
                                        ; implicit-def: $vgpr57
	s_and_saveexec_b64 s[24:25], s[0:1]
	s_xor_b64 s[0:1], exec, s[24:25]
; %bb.192:                              ;   in Loop: Header=BB10_3 Depth=1
	v_bfe_u32 v57, v60, 16, 1
	v_add3_u32 v57, v60, v57, s28
                                        ; implicit-def: $vgpr60
; %bb.193:                              ;   in Loop: Header=BB10_3 Depth=1
	s_andn2_saveexec_b64 s[24:25], s[0:1]
; %bb.194:                              ;   in Loop: Header=BB10_3 Depth=1
	v_or_b32_e32 v57, 0x10000, v60
	v_cmp_eq_u32_sdwa s[0:1], v60, v35 src0_sel:WORD_0 src1_sel:DWORD
	v_cndmask_b32_e64 v57, v57, v60, s[0:1]
; %bb.195:                              ;   in Loop: Header=BB10_3 Depth=1
	s_or_b64 exec, exec, s[24:25]
	v_and_b32_e32 v58, 0xffff0000, v58
	v_fma_f32 v60, v58, v39, v24
	v_and_b32_e32 v58, 0x7f800000, v60
	v_cmp_ne_u32_e64 s[0:1], s6, v58
                                        ; implicit-def: $vgpr58
	s_and_saveexec_b64 s[24:25], s[0:1]
	s_xor_b64 s[0:1], exec, s[24:25]
; %bb.196:                              ;   in Loop: Header=BB10_3 Depth=1
	v_bfe_u32 v58, v60, 16, 1
	v_add3_u32 v58, v60, v58, s28
                                        ; implicit-def: $vgpr60
; %bb.197:                              ;   in Loop: Header=BB10_3 Depth=1
	s_andn2_saveexec_b64 s[24:25], s[0:1]
; %bb.198:                              ;   in Loop: Header=BB10_3 Depth=1
	v_or_b32_e32 v58, 0x10000, v60
	v_cmp_eq_u32_sdwa s[0:1], v60, v35 src0_sel:WORD_0 src1_sel:DWORD
	v_cndmask_b32_e64 v58, v58, v60, s[0:1]
; %bb.199:                              ;   in Loop: Header=BB10_3 Depth=1
	s_or_b64 exec, exec, s[24:25]
	v_and_b32_e32 v59, 0xffff0000, v59
	v_fma_f32 v60, v59, v39, v24
	v_and_b32_e32 v59, 0x7f800000, v60
	v_cmp_ne_u32_e64 s[0:1], s6, v59
                                        ; implicit-def: $vgpr59
	s_and_saveexec_b64 s[24:25], s[0:1]
	s_xor_b64 s[0:1], exec, s[24:25]
; %bb.200:                              ;   in Loop: Header=BB10_3 Depth=1
	v_bfe_u32 v59, v60, 16, 1
	v_add3_u32 v59, v60, v59, s28
                                        ; implicit-def: $vgpr60
; %bb.201:                              ;   in Loop: Header=BB10_3 Depth=1
	s_andn2_saveexec_b64 s[24:25], s[0:1]
; %bb.202:                              ;   in Loop: Header=BB10_3 Depth=1
	v_or_b32_e32 v59, 0x10000, v60
	v_cmp_eq_u32_sdwa s[0:1], v60, v35 src0_sel:WORD_0 src1_sel:DWORD
	v_cndmask_b32_e64 v59, v59, v60, s[0:1]
; %bb.203:                              ;   in Loop: Header=BB10_3 Depth=1
	s_or_b64 exec, exec, s[24:25]
	v_lshrrev_b32_e32 v61, 4, v23
	;;#ASMSTART
	v_and_or_b32 v60, v23, v36, v37
	;;#ASMEND
	;;#ASMSTART
	v_and_or_b32 v62, v61, v36, v37
	;;#ASMEND
	v_lshrrev_b32_e32 v61, 8, v23
	v_lshrrev_b32_e32 v23, 12, v23
	;;#ASMSTART
	v_and_or_b32 v64, v61, v36, v37
	;;#ASMEND
	;;#ASMSTART
	v_and_or_b32 v66, v23, v36, v37
	;;#ASMEND
	v_lshlrev_b32_e32 v23, 16, v60
	v_add_f32_e32 v61, 0xc3080000, v23
	v_and_b32_e32 v23, 0x7f800000, v61
	v_cmp_ne_u32_e64 s[0:1], s6, v23
                                        ; implicit-def: $vgpr23
	s_and_saveexec_b64 s[24:25], s[0:1]
	s_xor_b64 s[0:1], exec, s[24:25]
; %bb.204:                              ;   in Loop: Header=BB10_3 Depth=1
	v_bfe_u32 v23, v61, 16, 1
	v_add3_u32 v23, v61, v23, s28
                                        ; implicit-def: $vgpr61
; %bb.205:                              ;   in Loop: Header=BB10_3 Depth=1
	s_andn2_saveexec_b64 s[24:25], s[0:1]
; %bb.206:                              ;   in Loop: Header=BB10_3 Depth=1
	v_or_b32_e32 v23, 0x10000, v61
	v_cmp_eq_u32_sdwa s[0:1], v61, v35 src0_sel:WORD_0 src1_sel:DWORD
	v_cndmask_b32_e64 v23, v23, v61, s[0:1]
; %bb.207:                              ;   in Loop: Header=BB10_3 Depth=1
	s_or_b64 exec, exec, s[24:25]
	v_and_b32_e32 v60, 0xffff0000, v60
	v_add_f32_e32 v61, 0xc3080000, v60
	v_and_b32_e32 v60, 0x7f800000, v61
	v_cmp_ne_u32_e64 s[0:1], s6, v60
                                        ; implicit-def: $vgpr60
	s_and_saveexec_b64 s[24:25], s[0:1]
	s_xor_b64 s[0:1], exec, s[24:25]
; %bb.208:                              ;   in Loop: Header=BB10_3 Depth=1
	v_bfe_u32 v60, v61, 16, 1
	v_add3_u32 v60, v61, v60, s28
                                        ; implicit-def: $vgpr61
; %bb.209:                              ;   in Loop: Header=BB10_3 Depth=1
	s_andn2_saveexec_b64 s[24:25], s[0:1]
; %bb.210:                              ;   in Loop: Header=BB10_3 Depth=1
	v_or_b32_e32 v60, 0x10000, v61
	v_cmp_eq_u32_sdwa s[0:1], v61, v35 src0_sel:WORD_0 src1_sel:DWORD
	v_cndmask_b32_e64 v60, v60, v61, s[0:1]
; %bb.211:                              ;   in Loop: Header=BB10_3 Depth=1
	s_or_b64 exec, exec, s[24:25]
	v_lshlrev_b32_e32 v61, 16, v62
	v_add_f32_e32 v63, 0xc3080000, v61
	v_and_b32_e32 v61, 0x7f800000, v63
	v_cmp_ne_u32_e64 s[0:1], s6, v61
                                        ; implicit-def: $vgpr61
	s_and_saveexec_b64 s[24:25], s[0:1]
	s_xor_b64 s[0:1], exec, s[24:25]
; %bb.212:                              ;   in Loop: Header=BB10_3 Depth=1
	v_bfe_u32 v61, v63, 16, 1
	v_add3_u32 v61, v63, v61, s28
                                        ; implicit-def: $vgpr63
; %bb.213:                              ;   in Loop: Header=BB10_3 Depth=1
	s_andn2_saveexec_b64 s[24:25], s[0:1]
; %bb.214:                              ;   in Loop: Header=BB10_3 Depth=1
	v_or_b32_e32 v61, 0x10000, v63
	v_cmp_eq_u32_sdwa s[0:1], v63, v35 src0_sel:WORD_0 src1_sel:DWORD
	v_cndmask_b32_e64 v61, v61, v63, s[0:1]
; %bb.215:                              ;   in Loop: Header=BB10_3 Depth=1
	s_or_b64 exec, exec, s[24:25]
	v_and_b32_e32 v62, 0xffff0000, v62
	v_add_f32_e32 v63, 0xc3080000, v62
	v_and_b32_e32 v62, 0x7f800000, v63
	v_cmp_ne_u32_e64 s[0:1], s6, v62
                                        ; implicit-def: $vgpr62
	s_and_saveexec_b64 s[24:25], s[0:1]
	s_xor_b64 s[0:1], exec, s[24:25]
; %bb.216:                              ;   in Loop: Header=BB10_3 Depth=1
	v_bfe_u32 v62, v63, 16, 1
	v_add3_u32 v62, v63, v62, s28
                                        ; implicit-def: $vgpr63
; %bb.217:                              ;   in Loop: Header=BB10_3 Depth=1
	s_andn2_saveexec_b64 s[24:25], s[0:1]
; %bb.218:                              ;   in Loop: Header=BB10_3 Depth=1
	v_or_b32_e32 v62, 0x10000, v63
	v_cmp_eq_u32_sdwa s[0:1], v63, v35 src0_sel:WORD_0 src1_sel:DWORD
	v_cndmask_b32_e64 v62, v62, v63, s[0:1]
; %bb.219:                              ;   in Loop: Header=BB10_3 Depth=1
	s_or_b64 exec, exec, s[24:25]
	v_lshlrev_b32_e32 v63, 16, v64
	v_add_f32_e32 v65, 0xc3080000, v63
	v_and_b32_e32 v63, 0x7f800000, v65
	v_cmp_ne_u32_e64 s[0:1], s6, v63
                                        ; implicit-def: $vgpr63
	s_and_saveexec_b64 s[24:25], s[0:1]
	s_xor_b64 s[0:1], exec, s[24:25]
; %bb.220:                              ;   in Loop: Header=BB10_3 Depth=1
	v_bfe_u32 v63, v65, 16, 1
	v_add3_u32 v63, v65, v63, s28
                                        ; implicit-def: $vgpr65
; %bb.221:                              ;   in Loop: Header=BB10_3 Depth=1
	s_andn2_saveexec_b64 s[24:25], s[0:1]
; %bb.222:                              ;   in Loop: Header=BB10_3 Depth=1
	v_or_b32_e32 v63, 0x10000, v65
	v_cmp_eq_u32_sdwa s[0:1], v65, v35 src0_sel:WORD_0 src1_sel:DWORD
	v_cndmask_b32_e64 v63, v63, v65, s[0:1]
; %bb.223:                              ;   in Loop: Header=BB10_3 Depth=1
	s_or_b64 exec, exec, s[24:25]
	v_and_b32_e32 v64, 0xffff0000, v64
	v_add_f32_e32 v65, 0xc3080000, v64
	v_and_b32_e32 v64, 0x7f800000, v65
	v_cmp_ne_u32_e64 s[0:1], s6, v64
                                        ; implicit-def: $vgpr64
	s_and_saveexec_b64 s[24:25], s[0:1]
	s_xor_b64 s[0:1], exec, s[24:25]
; %bb.224:                              ;   in Loop: Header=BB10_3 Depth=1
	v_bfe_u32 v64, v65, 16, 1
	v_add3_u32 v64, v65, v64, s28
                                        ; implicit-def: $vgpr65
; %bb.225:                              ;   in Loop: Header=BB10_3 Depth=1
	s_andn2_saveexec_b64 s[24:25], s[0:1]
; %bb.226:                              ;   in Loop: Header=BB10_3 Depth=1
	v_or_b32_e32 v64, 0x10000, v65
	v_cmp_eq_u32_sdwa s[0:1], v65, v35 src0_sel:WORD_0 src1_sel:DWORD
	v_cndmask_b32_e64 v64, v64, v65, s[0:1]
; %bb.227:                              ;   in Loop: Header=BB10_3 Depth=1
	s_or_b64 exec, exec, s[24:25]
	v_lshlrev_b32_e32 v65, 16, v66
	v_add_f32_e32 v67, 0xc3080000, v65
	v_and_b32_e32 v65, 0x7f800000, v67
	v_cmp_ne_u32_e64 s[0:1], s6, v65
                                        ; implicit-def: $vgpr65
	s_and_saveexec_b64 s[24:25], s[0:1]
	s_xor_b64 s[0:1], exec, s[24:25]
; %bb.228:                              ;   in Loop: Header=BB10_3 Depth=1
	v_bfe_u32 v65, v67, 16, 1
	v_add3_u32 v65, v67, v65, s28
                                        ; implicit-def: $vgpr67
; %bb.229:                              ;   in Loop: Header=BB10_3 Depth=1
	s_andn2_saveexec_b64 s[24:25], s[0:1]
; %bb.230:                              ;   in Loop: Header=BB10_3 Depth=1
	v_or_b32_e32 v65, 0x10000, v67
	v_cmp_eq_u32_sdwa s[0:1], v67, v35 src0_sel:WORD_0 src1_sel:DWORD
	v_cndmask_b32_e64 v65, v65, v67, s[0:1]
; %bb.231:                              ;   in Loop: Header=BB10_3 Depth=1
	s_or_b64 exec, exec, s[24:25]
	v_and_b32_e32 v66, 0xffff0000, v66
	v_add_f32_e32 v67, 0xc3080000, v66
	v_and_b32_e32 v66, 0x7f800000, v67
	v_cmp_ne_u32_e64 s[0:1], s6, v66
                                        ; implicit-def: $vgpr66
	s_and_saveexec_b64 s[24:25], s[0:1]
	s_xor_b64 s[0:1], exec, s[24:25]
; %bb.232:                              ;   in Loop: Header=BB10_3 Depth=1
	v_bfe_u32 v66, v67, 16, 1
	v_add3_u32 v66, v67, v66, s28
                                        ; implicit-def: $vgpr67
; %bb.233:                              ;   in Loop: Header=BB10_3 Depth=1
	s_andn2_saveexec_b64 s[24:25], s[0:1]
; %bb.234:                              ;   in Loop: Header=BB10_3 Depth=1
	v_or_b32_e32 v66, 0x10000, v67
	v_cmp_eq_u32_sdwa s[0:1], v67, v35 src0_sel:WORD_0 src1_sel:DWORD
	v_cndmask_b32_e64 v66, v66, v67, s[0:1]
; %bb.235:                              ;   in Loop: Header=BB10_3 Depth=1
	s_or_b64 exec, exec, s[24:25]
	v_and_b32_e32 v23, 0xffff0000, v23
	v_fma_f32 v67, v23, v39, v24
	v_and_b32_e32 v23, 0x7f800000, v67
	v_cmp_ne_u32_e64 s[0:1], s6, v23
                                        ; implicit-def: $vgpr23
	s_and_saveexec_b64 s[24:25], s[0:1]
	s_xor_b64 s[0:1], exec, s[24:25]
; %bb.236:                              ;   in Loop: Header=BB10_3 Depth=1
	v_bfe_u32 v23, v67, 16, 1
	v_add3_u32 v23, v67, v23, s28
                                        ; implicit-def: $vgpr67
; %bb.237:                              ;   in Loop: Header=BB10_3 Depth=1
	s_andn2_saveexec_b64 s[24:25], s[0:1]
; %bb.238:                              ;   in Loop: Header=BB10_3 Depth=1
	v_or_b32_e32 v23, 0x10000, v67
	v_cmp_eq_u32_sdwa s[0:1], v67, v35 src0_sel:WORD_0 src1_sel:DWORD
	v_cndmask_b32_e64 v23, v23, v67, s[0:1]
; %bb.239:                              ;   in Loop: Header=BB10_3 Depth=1
	s_or_b64 exec, exec, s[24:25]
	v_and_b32_e32 v60, 0xffff0000, v60
	v_fma_f32 v67, v60, v39, v24
	v_and_b32_e32 v60, 0x7f800000, v67
	v_cmp_ne_u32_e64 s[0:1], s6, v60
                                        ; implicit-def: $vgpr60
	s_and_saveexec_b64 s[24:25], s[0:1]
	s_xor_b64 s[0:1], exec, s[24:25]
; %bb.240:                              ;   in Loop: Header=BB10_3 Depth=1
	v_bfe_u32 v60, v67, 16, 1
	v_add3_u32 v60, v67, v60, s28
                                        ; implicit-def: $vgpr67
; %bb.241:                              ;   in Loop: Header=BB10_3 Depth=1
	s_andn2_saveexec_b64 s[24:25], s[0:1]
; %bb.242:                              ;   in Loop: Header=BB10_3 Depth=1
	v_or_b32_e32 v60, 0x10000, v67
	v_cmp_eq_u32_sdwa s[0:1], v67, v35 src0_sel:WORD_0 src1_sel:DWORD
	v_cndmask_b32_e64 v60, v60, v67, s[0:1]
; %bb.243:                              ;   in Loop: Header=BB10_3 Depth=1
	s_or_b64 exec, exec, s[24:25]
	v_and_b32_e32 v61, 0xffff0000, v61
	v_fma_f32 v67, v61, v39, v24
	v_and_b32_e32 v61, 0x7f800000, v67
	v_cmp_ne_u32_e64 s[0:1], s6, v61
                                        ; implicit-def: $vgpr61
	s_and_saveexec_b64 s[24:25], s[0:1]
	s_xor_b64 s[0:1], exec, s[24:25]
; %bb.244:                              ;   in Loop: Header=BB10_3 Depth=1
	v_bfe_u32 v61, v67, 16, 1
	v_add3_u32 v61, v67, v61, s28
                                        ; implicit-def: $vgpr67
; %bb.245:                              ;   in Loop: Header=BB10_3 Depth=1
	s_andn2_saveexec_b64 s[24:25], s[0:1]
; %bb.246:                              ;   in Loop: Header=BB10_3 Depth=1
	v_or_b32_e32 v61, 0x10000, v67
	v_cmp_eq_u32_sdwa s[0:1], v67, v35 src0_sel:WORD_0 src1_sel:DWORD
	v_cndmask_b32_e64 v61, v61, v67, s[0:1]
; %bb.247:                              ;   in Loop: Header=BB10_3 Depth=1
	s_or_b64 exec, exec, s[24:25]
	v_and_b32_e32 v62, 0xffff0000, v62
	v_fma_f32 v67, v62, v39, v24
	v_and_b32_e32 v62, 0x7f800000, v67
	v_cmp_ne_u32_e64 s[0:1], s6, v62
                                        ; implicit-def: $vgpr62
	s_and_saveexec_b64 s[24:25], s[0:1]
	s_xor_b64 s[0:1], exec, s[24:25]
; %bb.248:                              ;   in Loop: Header=BB10_3 Depth=1
	v_bfe_u32 v62, v67, 16, 1
	v_add3_u32 v62, v67, v62, s28
                                        ; implicit-def: $vgpr67
; %bb.249:                              ;   in Loop: Header=BB10_3 Depth=1
	s_andn2_saveexec_b64 s[24:25], s[0:1]
; %bb.250:                              ;   in Loop: Header=BB10_3 Depth=1
	v_or_b32_e32 v62, 0x10000, v67
	v_cmp_eq_u32_sdwa s[0:1], v67, v35 src0_sel:WORD_0 src1_sel:DWORD
	v_cndmask_b32_e64 v62, v62, v67, s[0:1]
; %bb.251:                              ;   in Loop: Header=BB10_3 Depth=1
	s_or_b64 exec, exec, s[24:25]
	v_and_b32_e32 v63, 0xffff0000, v63
	v_fma_f32 v67, v63, v39, v24
	v_and_b32_e32 v63, 0x7f800000, v67
	v_cmp_ne_u32_e64 s[0:1], s6, v63
                                        ; implicit-def: $vgpr63
	s_and_saveexec_b64 s[24:25], s[0:1]
	s_xor_b64 s[0:1], exec, s[24:25]
; %bb.252:                              ;   in Loop: Header=BB10_3 Depth=1
	v_bfe_u32 v63, v67, 16, 1
	v_add3_u32 v63, v67, v63, s28
                                        ; implicit-def: $vgpr67
; %bb.253:                              ;   in Loop: Header=BB10_3 Depth=1
	s_andn2_saveexec_b64 s[24:25], s[0:1]
; %bb.254:                              ;   in Loop: Header=BB10_3 Depth=1
	v_or_b32_e32 v63, 0x10000, v67
	v_cmp_eq_u32_sdwa s[0:1], v67, v35 src0_sel:WORD_0 src1_sel:DWORD
	v_cndmask_b32_e64 v63, v63, v67, s[0:1]
; %bb.255:                              ;   in Loop: Header=BB10_3 Depth=1
	s_or_b64 exec, exec, s[24:25]
	v_and_b32_e32 v64, 0xffff0000, v64
	v_fma_f32 v67, v64, v39, v24
	v_and_b32_e32 v64, 0x7f800000, v67
	v_cmp_ne_u32_e64 s[0:1], s6, v64
                                        ; implicit-def: $vgpr64
	s_and_saveexec_b64 s[24:25], s[0:1]
	s_xor_b64 s[0:1], exec, s[24:25]
; %bb.256:                              ;   in Loop: Header=BB10_3 Depth=1
	v_bfe_u32 v64, v67, 16, 1
	v_add3_u32 v64, v67, v64, s28
                                        ; implicit-def: $vgpr67
; %bb.257:                              ;   in Loop: Header=BB10_3 Depth=1
	s_andn2_saveexec_b64 s[24:25], s[0:1]
; %bb.258:                              ;   in Loop: Header=BB10_3 Depth=1
	v_or_b32_e32 v64, 0x10000, v67
	v_cmp_eq_u32_sdwa s[0:1], v67, v35 src0_sel:WORD_0 src1_sel:DWORD
	v_cndmask_b32_e64 v64, v64, v67, s[0:1]
; %bb.259:                              ;   in Loop: Header=BB10_3 Depth=1
	s_or_b64 exec, exec, s[24:25]
	v_and_b32_e32 v65, 0xffff0000, v65
	v_fma_f32 v67, v65, v39, v24
	v_and_b32_e32 v65, 0x7f800000, v67
	v_cmp_ne_u32_e64 s[0:1], s6, v65
                                        ; implicit-def: $vgpr65
	s_and_saveexec_b64 s[24:25], s[0:1]
	s_xor_b64 s[0:1], exec, s[24:25]
; %bb.260:                              ;   in Loop: Header=BB10_3 Depth=1
	v_bfe_u32 v65, v67, 16, 1
	v_add3_u32 v65, v67, v65, s28
                                        ; implicit-def: $vgpr67
; %bb.261:                              ;   in Loop: Header=BB10_3 Depth=1
	s_andn2_saveexec_b64 s[24:25], s[0:1]
; %bb.262:                              ;   in Loop: Header=BB10_3 Depth=1
	v_or_b32_e32 v65, 0x10000, v67
	v_cmp_eq_u32_sdwa s[0:1], v67, v35 src0_sel:WORD_0 src1_sel:DWORD
	v_cndmask_b32_e64 v65, v65, v67, s[0:1]
; %bb.263:                              ;   in Loop: Header=BB10_3 Depth=1
	s_or_b64 exec, exec, s[24:25]
	v_and_b32_e32 v66, 0xffff0000, v66
	v_fmac_f32_e32 v24, v66, v39
	v_and_b32_e32 v39, 0x7f800000, v24
	v_cmp_ne_u32_e64 s[0:1], s6, v39
                                        ; implicit-def: $vgpr39
	s_and_saveexec_b64 s[24:25], s[0:1]
	s_xor_b64 s[0:1], exec, s[24:25]
; %bb.264:                              ;   in Loop: Header=BB10_3 Depth=1
	v_bfe_u32 v39, v24, 16, 1
	v_add3_u32 v39, v24, v39, s28
                                        ; implicit-def: $vgpr24
; %bb.265:                              ;   in Loop: Header=BB10_3 Depth=1
	s_andn2_saveexec_b64 s[24:25], s[0:1]
	s_cbranch_execz .LBB10_2
; %bb.266:                              ;   in Loop: Header=BB10_3 Depth=1
	v_or_b32_e32 v39, 0x10000, v24
	v_cmp_eq_u32_sdwa s[0:1], v24, v35 src0_sel:WORD_0 src1_sel:DWORD
	v_cndmask_b32_e64 v39, v39, v24, s[0:1]
	s_branch .LBB10_2
.LBB10_267:
	s_or_b64 exec, exec, s[10:11]
.LBB10_268:
	s_or_b64 exec, exec, s[4:5]
	v_lshl_add_u32 v14, v28, 2, s19
	v_cmp_gt_u32_e32 vcc, s3, v14
	s_and_saveexec_b64 s[0:1], vcc
	s_cbranch_execz .LBB10_402
; %bb.269:
	v_lshl_or_b32 v8, s8, 4, v29
	v_mul_lo_u32 v6, v8, s18
	v_ashrrev_i32_e32 v7, 31, v6
	v_and_b32_e32 v4, 0xfc, v27
	v_lshlrev_b64 v[6:7], 1, v[6:7]
	v_lshl_add_u32 v4, v14, 4, v4
	v_mov_b32_e32 v5, s21
	v_add_co_u32_e32 v6, vcc, s20, v6
	v_addc_co_u32_e32 v7, vcc, v5, v7, vcc
	v_ashrrev_i32_e32 v5, 31, v4
	v_lshlrev_b64 v[4:5], 1, v[4:5]
	v_add_co_u32_e32 v12, vcc, v6, v4
	v_addc_co_u32_e32 v13, vcc, v7, v5, vcc
	v_cmp_gt_i32_e32 vcc, s16, v8
	v_mov_b32_e32 v4, 0
	v_mov_b32_e32 v10, 0
	;; [unrolled: 1-line block ×5, first 2 shown]
	s_and_saveexec_b64 s[4:5], vcc
	s_cbranch_execz .LBB10_271
; %bb.270:
	global_load_dwordx2 v[10:11], v[12:13], off
	global_load_dwordx2 v[8:9], v[12:13], off offset:32
.LBB10_271:
	s_or_b64 exec, exec, s[4:5]
	v_mov_b32_e32 v5, 0
	v_mov_b32_e32 v6, 0
	;; [unrolled: 1-line block ×3, first 2 shown]
	s_and_saveexec_b64 s[4:5], vcc
	s_cbranch_execz .LBB10_273
; %bb.272:
	global_load_dwordx2 v[4:5], v[12:13], off offset:64
	global_load_dwordx2 v[6:7], v[12:13], off offset:96
.LBB10_273:
	s_or_b64 exec, exec, s[4:5]
	s_lshr_b32 s4, s9, 30
	s_add_i32 s3, s3, s4
	s_lshr_b32 s3, s3, 2
	s_mul_i32 s3, s3, s7
	v_lshrrev_b32_e32 v12, 2, v14
	v_add_u32_e32 v12, s3, v12
	v_ashrrev_i32_e32 v16, 31, v14
	v_lshl_add_u32 v12, v12, 7, v30
	v_lshrrev_b32_e32 v16, 28, v16
	v_ashrrev_i32_e32 v13, 31, v12
	v_add_u32_e32 v14, v14, v16
	v_lshlrev_b64 v[12:13], 2, v[12:13]
	v_lshrrev_b32_e32 v14, 4, v14
	v_mov_b32_e32 v15, s23
	v_add_co_u32_e32 v12, vcc, s22, v12
	v_mul_lo_u32 v14, s2, v14
	v_addc_co_u32_e32 v13, vcc, v15, v13, vcc
	v_lshl_or_b32 v15, s7, 4, v29
	v_lshlrev_b32_e32 v14, 4, v14
	global_load_dwordx2 v[12:13], v[12:13], off
	v_add_lshl_u32 v14, v15, v14, 1
	v_ashrrev_i32_e32 v15, 31, v14
	v_lshlrev_b64 v[14:15], 1, v[14:15]
	v_mov_b32_e32 v16, s13
	v_add_co_u32_e32 v14, vcc, s12, v14
	v_addc_co_u32_e32 v15, vcc, v16, v15, vcc
	global_load_dword v14, v[14:15], off
	v_mov_b32_e32 v15, 0xf000f
	v_mov_b32_e32 v17, 0x43004300
	s_waitcnt vmcnt(1)
	;;#ASMSTART
	v_and_or_b32 v16, v12, v15, v17
	;;#ASMEND
	s_mov_b32 s2, 0x7f800000
	v_lshrrev_b32_e32 v18, 4, v12
	v_lshrrev_b32_e32 v19, 8, v12
	;; [unrolled: 1-line block ×3, first 2 shown]
	;;#ASMSTART
	v_and_or_b32 v18, v18, v15, v17
	;;#ASMEND
	;;#ASMSTART
	v_and_or_b32 v20, v19, v15, v17
	;;#ASMEND
	;; [unrolled: 3-line block ×3, first 2 shown]
	v_lshlrev_b32_e32 v12, 16, v16
	v_add_f32_e32 v17, 0xc3080000, v12
	v_and_b32_e32 v12, 0x7f800000, v17
	v_cmp_ne_u32_e32 vcc, s2, v12
                                        ; implicit-def: $vgpr12
	s_and_saveexec_b64 s[2:3], vcc
	s_xor_b64 s[2:3], exec, s[2:3]
; %bb.274:
	v_bfe_u32 v12, v17, 16, 1
	s_movk_i32 s4, 0x7fff
	v_add3_u32 v12, v17, v12, s4
                                        ; implicit-def: $vgpr17
; %bb.275:
	s_andn2_saveexec_b64 s[2:3], s[2:3]
; %bb.276:
	v_mov_b32_e32 v12, 0
	v_or_b32_e32 v19, 0x10000, v17
	v_cmp_eq_u32_sdwa vcc, v17, v12 src0_sel:WORD_0 src1_sel:DWORD
	v_cndmask_b32_e32 v12, v19, v17, vcc
; %bb.277:
	s_or_b64 exec, exec, s[2:3]
	v_and_b32_e32 v16, 0xffff0000, v16
	v_add_f32_e32 v17, 0xc3080000, v16
	s_mov_b32 s2, 0x7f800000
	v_and_b32_e32 v16, 0x7f800000, v17
	v_cmp_ne_u32_e32 vcc, s2, v16
                                        ; implicit-def: $vgpr16
	s_and_saveexec_b64 s[2:3], vcc
	s_xor_b64 s[2:3], exec, s[2:3]
; %bb.278:
	v_bfe_u32 v16, v17, 16, 1
	s_movk_i32 s4, 0x7fff
	v_add3_u32 v16, v17, v16, s4
                                        ; implicit-def: $vgpr17
; %bb.279:
	s_andn2_saveexec_b64 s[2:3], s[2:3]
; %bb.280:
	v_mov_b32_e32 v16, 0
	v_or_b32_e32 v19, 0x10000, v17
	v_cmp_eq_u32_sdwa vcc, v17, v16 src0_sel:WORD_0 src1_sel:DWORD
	v_cndmask_b32_e32 v16, v19, v17, vcc
; %bb.281:
	s_or_b64 exec, exec, s[2:3]
	v_lshlrev_b32_e32 v17, 16, v18
	v_add_f32_e32 v19, 0xc3080000, v17
	s_mov_b32 s2, 0x7f800000
	v_and_b32_e32 v17, 0x7f800000, v19
	v_cmp_ne_u32_e32 vcc, s2, v17
                                        ; implicit-def: $vgpr17
	s_and_saveexec_b64 s[2:3], vcc
	s_xor_b64 s[2:3], exec, s[2:3]
; %bb.282:
	v_bfe_u32 v17, v19, 16, 1
	s_movk_i32 s4, 0x7fff
	v_add3_u32 v17, v19, v17, s4
                                        ; implicit-def: $vgpr19
; %bb.283:
	s_andn2_saveexec_b64 s[2:3], s[2:3]
; %bb.284:
	v_mov_b32_e32 v17, 0
	v_or_b32_e32 v21, 0x10000, v19
	v_cmp_eq_u32_sdwa vcc, v19, v17 src0_sel:WORD_0 src1_sel:DWORD
	v_cndmask_b32_e32 v17, v21, v19, vcc
; %bb.285:
	s_or_b64 exec, exec, s[2:3]
	v_and_b32_e32 v18, 0xffff0000, v18
	v_add_f32_e32 v19, 0xc3080000, v18
	s_mov_b32 s2, 0x7f800000
	v_and_b32_e32 v18, 0x7f800000, v19
	v_cmp_ne_u32_e32 vcc, s2, v18
                                        ; implicit-def: $vgpr18
	s_and_saveexec_b64 s[2:3], vcc
	s_xor_b64 s[2:3], exec, s[2:3]
; %bb.286:
	v_bfe_u32 v18, v19, 16, 1
	s_movk_i32 s4, 0x7fff
	v_add3_u32 v18, v19, v18, s4
                                        ; implicit-def: $vgpr19
; %bb.287:
	s_andn2_saveexec_b64 s[2:3], s[2:3]
; %bb.288:
	v_mov_b32_e32 v18, 0
	v_or_b32_e32 v21, 0x10000, v19
	v_cmp_eq_u32_sdwa vcc, v19, v18 src0_sel:WORD_0 src1_sel:DWORD
	v_cndmask_b32_e32 v18, v21, v19, vcc
; %bb.289:
	s_or_b64 exec, exec, s[2:3]
	v_lshlrev_b32_e32 v19, 16, v20
	v_add_f32_e32 v21, 0xc3080000, v19
	s_mov_b32 s2, 0x7f800000
	v_and_b32_e32 v19, 0x7f800000, v21
	v_cmp_ne_u32_e32 vcc, s2, v19
                                        ; implicit-def: $vgpr19
	s_and_saveexec_b64 s[2:3], vcc
	s_xor_b64 s[2:3], exec, s[2:3]
; %bb.290:
	v_bfe_u32 v19, v21, 16, 1
	s_movk_i32 s4, 0x7fff
	v_add3_u32 v19, v21, v19, s4
                                        ; implicit-def: $vgpr21
; %bb.291:
	s_andn2_saveexec_b64 s[2:3], s[2:3]
; %bb.292:
	v_mov_b32_e32 v19, 0
	v_or_b32_e32 v22, 0x10000, v21
	v_cmp_eq_u32_sdwa vcc, v21, v19 src0_sel:WORD_0 src1_sel:DWORD
	v_cndmask_b32_e32 v19, v22, v21, vcc
; %bb.293:
	s_or_b64 exec, exec, s[2:3]
	v_and_b32_e32 v20, 0xffff0000, v20
	v_add_f32_e32 v21, 0xc3080000, v20
	s_mov_b32 s2, 0x7f800000
	v_and_b32_e32 v20, 0x7f800000, v21
	v_cmp_ne_u32_e32 vcc, s2, v20
                                        ; implicit-def: $vgpr20
	s_and_saveexec_b64 s[2:3], vcc
	s_xor_b64 s[2:3], exec, s[2:3]
; %bb.294:
	v_bfe_u32 v20, v21, 16, 1
	s_movk_i32 s4, 0x7fff
	v_add3_u32 v20, v21, v20, s4
                                        ; implicit-def: $vgpr21
; %bb.295:
	s_andn2_saveexec_b64 s[2:3], s[2:3]
; %bb.296:
	v_mov_b32_e32 v20, 0
	v_or_b32_e32 v22, 0x10000, v21
	v_cmp_eq_u32_sdwa vcc, v21, v20 src0_sel:WORD_0 src1_sel:DWORD
	v_cndmask_b32_e32 v20, v22, v21, vcc
; %bb.297:
	s_or_b64 exec, exec, s[2:3]
	v_lshlrev_b32_e32 v21, 16, v15
	v_add_f32_e32 v22, 0xc3080000, v21
	s_mov_b32 s2, 0x7f800000
	v_and_b32_e32 v21, 0x7f800000, v22
	v_cmp_ne_u32_e32 vcc, s2, v21
                                        ; implicit-def: $vgpr21
	s_and_saveexec_b64 s[2:3], vcc
	s_xor_b64 s[2:3], exec, s[2:3]
; %bb.298:
	v_bfe_u32 v21, v22, 16, 1
	s_movk_i32 s4, 0x7fff
	v_add3_u32 v21, v22, v21, s4
                                        ; implicit-def: $vgpr22
; %bb.299:
	s_andn2_saveexec_b64 s[2:3], s[2:3]
; %bb.300:
	v_mov_b32_e32 v21, 0
	v_or_b32_e32 v23, 0x10000, v22
	v_cmp_eq_u32_sdwa vcc, v22, v21 src0_sel:WORD_0 src1_sel:DWORD
	v_cndmask_b32_e32 v21, v23, v22, vcc
; %bb.301:
	s_or_b64 exec, exec, s[2:3]
	v_and_b32_e32 v15, 0xffff0000, v15
	v_add_f32_e32 v15, 0xc3080000, v15
	s_mov_b32 s2, 0x7f800000
	v_and_b32_e32 v22, 0x7f800000, v15
	v_cmp_ne_u32_e32 vcc, s2, v22
                                        ; implicit-def: $vgpr22
	s_and_saveexec_b64 s[2:3], vcc
	s_xor_b64 s[2:3], exec, s[2:3]
; %bb.302:
	v_bfe_u32 v22, v15, 16, 1
	s_movk_i32 s4, 0x7fff
	v_add3_u32 v22, v15, v22, s4
                                        ; implicit-def: $vgpr15
; %bb.303:
	s_andn2_saveexec_b64 s[2:3], s[2:3]
; %bb.304:
	v_mov_b32_e32 v22, 0
	v_or_b32_e32 v23, 0x10000, v15
	v_cmp_eq_u32_sdwa vcc, v15, v22 src0_sel:WORD_0 src1_sel:DWORD
	v_cndmask_b32_e32 v22, v23, v15, vcc
; %bb.305:
	s_or_b64 exec, exec, s[2:3]
	v_and_b32_e32 v23, 0xffff0000, v12
	s_waitcnt vmcnt(0)
	v_lshlrev_b32_e32 v15, 16, v14
	v_and_b32_e32 v12, 0xffff0000, v14
	v_fma_f32 v23, v23, v15, v12
	s_mov_b32 s2, 0x7f800000
	v_and_b32_e32 v14, 0x7f800000, v23
	v_cmp_ne_u32_e32 vcc, s2, v14
                                        ; implicit-def: $vgpr14
	s_and_saveexec_b64 s[2:3], vcc
	s_xor_b64 s[2:3], exec, s[2:3]
; %bb.306:
	v_bfe_u32 v14, v23, 16, 1
	s_movk_i32 s4, 0x7fff
	v_add3_u32 v14, v23, v14, s4
                                        ; implicit-def: $vgpr23
; %bb.307:
	s_andn2_saveexec_b64 s[2:3], s[2:3]
; %bb.308:
	v_mov_b32_e32 v14, 0
	v_or_b32_e32 v24, 0x10000, v23
	v_cmp_eq_u32_sdwa vcc, v23, v14 src0_sel:WORD_0 src1_sel:DWORD
	v_cndmask_b32_e32 v14, v24, v23, vcc
; %bb.309:
	s_or_b64 exec, exec, s[2:3]
	v_and_b32_e32 v16, 0xffff0000, v16
	v_fma_f32 v23, v16, v15, v12
	s_mov_b32 s2, 0x7f800000
	v_and_b32_e32 v16, 0x7f800000, v23
	v_cmp_ne_u32_e32 vcc, s2, v16
                                        ; implicit-def: $vgpr16
	s_and_saveexec_b64 s[2:3], vcc
	s_xor_b64 s[2:3], exec, s[2:3]
; %bb.310:
	v_bfe_u32 v16, v23, 16, 1
	s_movk_i32 s4, 0x7fff
	v_add3_u32 v16, v23, v16, s4
                                        ; implicit-def: $vgpr23
; %bb.311:
	s_andn2_saveexec_b64 s[2:3], s[2:3]
; %bb.312:
	v_mov_b32_e32 v16, 0
	v_or_b32_e32 v24, 0x10000, v23
	v_cmp_eq_u32_sdwa vcc, v23, v16 src0_sel:WORD_0 src1_sel:DWORD
	v_cndmask_b32_e32 v16, v24, v23, vcc
; %bb.313:
	s_or_b64 exec, exec, s[2:3]
	v_and_b32_e32 v17, 0xffff0000, v17
	v_fma_f32 v23, v17, v15, v12
	s_mov_b32 s2, 0x7f800000
	v_and_b32_e32 v17, 0x7f800000, v23
	v_cmp_ne_u32_e32 vcc, s2, v17
                                        ; implicit-def: $vgpr17
	s_and_saveexec_b64 s[2:3], vcc
	s_xor_b64 s[2:3], exec, s[2:3]
; %bb.314:
	v_bfe_u32 v17, v23, 16, 1
	s_movk_i32 s4, 0x7fff
	v_add3_u32 v17, v23, v17, s4
                                        ; implicit-def: $vgpr23
; %bb.315:
	s_andn2_saveexec_b64 s[2:3], s[2:3]
; %bb.316:
	v_mov_b32_e32 v17, 0
	v_or_b32_e32 v24, 0x10000, v23
	v_cmp_eq_u32_sdwa vcc, v23, v17 src0_sel:WORD_0 src1_sel:DWORD
	v_cndmask_b32_e32 v17, v24, v23, vcc
; %bb.317:
	s_or_b64 exec, exec, s[2:3]
	v_and_b32_e32 v18, 0xffff0000, v18
	v_fma_f32 v23, v18, v15, v12
	s_mov_b32 s2, 0x7f800000
	v_and_b32_e32 v18, 0x7f800000, v23
	v_cmp_ne_u32_e32 vcc, s2, v18
                                        ; implicit-def: $vgpr18
	s_and_saveexec_b64 s[2:3], vcc
	s_xor_b64 s[2:3], exec, s[2:3]
; %bb.318:
	v_bfe_u32 v18, v23, 16, 1
	s_movk_i32 s4, 0x7fff
	v_add3_u32 v18, v23, v18, s4
                                        ; implicit-def: $vgpr23
; %bb.319:
	s_andn2_saveexec_b64 s[2:3], s[2:3]
; %bb.320:
	v_mov_b32_e32 v18, 0
	v_or_b32_e32 v24, 0x10000, v23
	v_cmp_eq_u32_sdwa vcc, v23, v18 src0_sel:WORD_0 src1_sel:DWORD
	v_cndmask_b32_e32 v18, v24, v23, vcc
; %bb.321:
	s_or_b64 exec, exec, s[2:3]
	v_and_b32_e32 v19, 0xffff0000, v19
	v_fma_f32 v23, v19, v15, v12
	s_mov_b32 s2, 0x7f800000
	v_and_b32_e32 v19, 0x7f800000, v23
	v_cmp_ne_u32_e32 vcc, s2, v19
                                        ; implicit-def: $vgpr19
	s_and_saveexec_b64 s[2:3], vcc
	s_xor_b64 s[2:3], exec, s[2:3]
; %bb.322:
	v_bfe_u32 v19, v23, 16, 1
	s_movk_i32 s4, 0x7fff
	v_add3_u32 v19, v23, v19, s4
                                        ; implicit-def: $vgpr23
; %bb.323:
	s_andn2_saveexec_b64 s[2:3], s[2:3]
; %bb.324:
	v_mov_b32_e32 v19, 0
	v_or_b32_e32 v24, 0x10000, v23
	v_cmp_eq_u32_sdwa vcc, v23, v19 src0_sel:WORD_0 src1_sel:DWORD
	v_cndmask_b32_e32 v19, v24, v23, vcc
; %bb.325:
	s_or_b64 exec, exec, s[2:3]
	v_and_b32_e32 v20, 0xffff0000, v20
	v_fma_f32 v23, v20, v15, v12
	s_mov_b32 s2, 0x7f800000
	v_and_b32_e32 v20, 0x7f800000, v23
	v_cmp_ne_u32_e32 vcc, s2, v20
                                        ; implicit-def: $vgpr20
	s_and_saveexec_b64 s[2:3], vcc
	s_xor_b64 s[2:3], exec, s[2:3]
; %bb.326:
	v_bfe_u32 v20, v23, 16, 1
	s_movk_i32 s4, 0x7fff
	v_add3_u32 v20, v23, v20, s4
                                        ; implicit-def: $vgpr23
; %bb.327:
	s_andn2_saveexec_b64 s[2:3], s[2:3]
; %bb.328:
	v_mov_b32_e32 v20, 0
	v_or_b32_e32 v24, 0x10000, v23
	v_cmp_eq_u32_sdwa vcc, v23, v20 src0_sel:WORD_0 src1_sel:DWORD
	v_cndmask_b32_e32 v20, v24, v23, vcc
; %bb.329:
	s_or_b64 exec, exec, s[2:3]
	v_and_b32_e32 v21, 0xffff0000, v21
	v_fma_f32 v23, v21, v15, v12
	s_mov_b32 s2, 0x7f800000
	v_and_b32_e32 v21, 0x7f800000, v23
	v_cmp_ne_u32_e32 vcc, s2, v21
                                        ; implicit-def: $vgpr21
	s_and_saveexec_b64 s[2:3], vcc
	s_xor_b64 s[2:3], exec, s[2:3]
; %bb.330:
	v_bfe_u32 v21, v23, 16, 1
	s_movk_i32 s4, 0x7fff
	v_add3_u32 v21, v23, v21, s4
                                        ; implicit-def: $vgpr23
; %bb.331:
	s_andn2_saveexec_b64 s[2:3], s[2:3]
; %bb.332:
	v_mov_b32_e32 v21, 0
	v_or_b32_e32 v24, 0x10000, v23
	v_cmp_eq_u32_sdwa vcc, v23, v21 src0_sel:WORD_0 src1_sel:DWORD
	v_cndmask_b32_e32 v21, v24, v23, vcc
; %bb.333:
	s_or_b64 exec, exec, s[2:3]
	v_and_b32_e32 v22, 0xffff0000, v22
	v_fma_f32 v23, v22, v15, v12
	s_mov_b32 s2, 0x7f800000
	v_and_b32_e32 v22, 0x7f800000, v23
	v_cmp_ne_u32_e32 vcc, s2, v22
                                        ; implicit-def: $vgpr22
	s_and_saveexec_b64 s[2:3], vcc
	s_xor_b64 s[2:3], exec, s[2:3]
; %bb.334:
	v_bfe_u32 v22, v23, 16, 1
	s_movk_i32 s4, 0x7fff
	v_add3_u32 v22, v23, v22, s4
                                        ; implicit-def: $vgpr23
; %bb.335:
	s_andn2_saveexec_b64 s[2:3], s[2:3]
; %bb.336:
	v_mov_b32_e32 v22, 0
	v_or_b32_e32 v24, 0x10000, v23
	v_cmp_eq_u32_sdwa vcc, v23, v22 src0_sel:WORD_0 src1_sel:DWORD
	v_cndmask_b32_e32 v22, v24, v23, vcc
; %bb.337:
	s_or_b64 exec, exec, s[2:3]
	v_mov_b32_e32 v24, 0xf000f
	v_mov_b32_e32 v29, 0x43004300
	;;#ASMSTART
	v_and_or_b32 v23, v13, v24, v29
	;;#ASMEND
	v_lshrrev_b32_e32 v25, 4, v13
	v_lshrrev_b32_e32 v30, 8, v13
	;; [unrolled: 1-line block ×3, first 2 shown]
	;;#ASMSTART
	v_and_or_b32 v25, v25, v24, v29
	;;#ASMEND
	;;#ASMSTART
	v_and_or_b32 v30, v30, v24, v29
	;;#ASMEND
	;; [unrolled: 3-line block ×3, first 2 shown]
	v_lshlrev_b32_e32 v13, 16, v23
	v_add_f32_e32 v24, 0xc3080000, v13
	s_mov_b32 s2, 0x7f800000
	v_and_b32_e32 v13, 0x7f800000, v24
	v_cmp_ne_u32_e32 vcc, s2, v13
                                        ; implicit-def: $vgpr13
	s_and_saveexec_b64 s[2:3], vcc
	s_xor_b64 s[2:3], exec, s[2:3]
; %bb.338:
	v_bfe_u32 v13, v24, 16, 1
	s_movk_i32 s4, 0x7fff
	v_add3_u32 v13, v24, v13, s4
                                        ; implicit-def: $vgpr24
; %bb.339:
	s_andn2_saveexec_b64 s[2:3], s[2:3]
; %bb.340:
	v_mov_b32_e32 v13, 0
	v_or_b32_e32 v29, 0x10000, v24
	v_cmp_eq_u32_sdwa vcc, v24, v13 src0_sel:WORD_0 src1_sel:DWORD
	v_cndmask_b32_e32 v13, v29, v24, vcc
; %bb.341:
	s_or_b64 exec, exec, s[2:3]
	v_and_b32_e32 v23, 0xffff0000, v23
	v_add_f32_e32 v24, 0xc3080000, v23
	s_mov_b32 s2, 0x7f800000
	v_and_b32_e32 v23, 0x7f800000, v24
	v_cmp_ne_u32_e32 vcc, s2, v23
                                        ; implicit-def: $vgpr23
	s_and_saveexec_b64 s[2:3], vcc
	s_xor_b64 s[2:3], exec, s[2:3]
; %bb.342:
	v_bfe_u32 v23, v24, 16, 1
	s_movk_i32 s4, 0x7fff
	v_add3_u32 v23, v24, v23, s4
                                        ; implicit-def: $vgpr24
; %bb.343:
	s_andn2_saveexec_b64 s[2:3], s[2:3]
; %bb.344:
	v_mov_b32_e32 v23, 0
	v_or_b32_e32 v29, 0x10000, v24
	v_cmp_eq_u32_sdwa vcc, v24, v23 src0_sel:WORD_0 src1_sel:DWORD
	v_cndmask_b32_e32 v23, v29, v24, vcc
; %bb.345:
	s_or_b64 exec, exec, s[2:3]
	v_lshlrev_b32_e32 v24, 16, v25
	v_add_f32_e32 v29, 0xc3080000, v24
	s_mov_b32 s2, 0x7f800000
	v_and_b32_e32 v24, 0x7f800000, v29
	v_cmp_ne_u32_e32 vcc, s2, v24
                                        ; implicit-def: $vgpr24
	s_and_saveexec_b64 s[2:3], vcc
	s_xor_b64 s[2:3], exec, s[2:3]
; %bb.346:
	v_bfe_u32 v24, v29, 16, 1
	s_movk_i32 s4, 0x7fff
	v_add3_u32 v24, v29, v24, s4
                                        ; implicit-def: $vgpr29
; %bb.347:
	s_andn2_saveexec_b64 s[2:3], s[2:3]
; %bb.348:
	v_mov_b32_e32 v24, 0
	v_or_b32_e32 v31, 0x10000, v29
	v_cmp_eq_u32_sdwa vcc, v29, v24 src0_sel:WORD_0 src1_sel:DWORD
	v_cndmask_b32_e32 v24, v31, v29, vcc
; %bb.349:
	s_or_b64 exec, exec, s[2:3]
	v_and_b32_e32 v25, 0xffff0000, v25
	v_add_f32_e32 v29, 0xc3080000, v25
	s_mov_b32 s2, 0x7f800000
	v_and_b32_e32 v25, 0x7f800000, v29
	v_cmp_ne_u32_e32 vcc, s2, v25
                                        ; implicit-def: $vgpr25
	s_and_saveexec_b64 s[2:3], vcc
	s_xor_b64 s[2:3], exec, s[2:3]
; %bb.350:
	v_bfe_u32 v25, v29, 16, 1
	s_movk_i32 s4, 0x7fff
	v_add3_u32 v25, v29, v25, s4
                                        ; implicit-def: $vgpr29
; %bb.351:
	s_andn2_saveexec_b64 s[2:3], s[2:3]
; %bb.352:
	v_mov_b32_e32 v25, 0
	v_or_b32_e32 v31, 0x10000, v29
	v_cmp_eq_u32_sdwa vcc, v29, v25 src0_sel:WORD_0 src1_sel:DWORD
	v_cndmask_b32_e32 v25, v31, v29, vcc
; %bb.353:
	s_or_b64 exec, exec, s[2:3]
	v_lshlrev_b32_e32 v29, 16, v30
	v_add_f32_e32 v31, 0xc3080000, v29
	s_mov_b32 s2, 0x7f800000
	v_and_b32_e32 v29, 0x7f800000, v31
	v_cmp_ne_u32_e32 vcc, s2, v29
                                        ; implicit-def: $vgpr29
	s_and_saveexec_b64 s[2:3], vcc
	s_xor_b64 s[2:3], exec, s[2:3]
; %bb.354:
	v_bfe_u32 v29, v31, 16, 1
	s_movk_i32 s4, 0x7fff
	v_add3_u32 v29, v31, v29, s4
                                        ; implicit-def: $vgpr31
; %bb.355:
	s_andn2_saveexec_b64 s[2:3], s[2:3]
; %bb.356:
	v_mov_b32_e32 v29, 0
	v_or_b32_e32 v33, 0x10000, v31
	v_cmp_eq_u32_sdwa vcc, v31, v29 src0_sel:WORD_0 src1_sel:DWORD
	v_cndmask_b32_e32 v29, v33, v31, vcc
; %bb.357:
	s_or_b64 exec, exec, s[2:3]
	v_and_b32_e32 v30, 0xffff0000, v30
	v_add_f32_e32 v31, 0xc3080000, v30
	s_mov_b32 s2, 0x7f800000
	v_and_b32_e32 v30, 0x7f800000, v31
	v_cmp_ne_u32_e32 vcc, s2, v30
                                        ; implicit-def: $vgpr30
	s_and_saveexec_b64 s[2:3], vcc
	s_xor_b64 s[2:3], exec, s[2:3]
; %bb.358:
	v_bfe_u32 v30, v31, 16, 1
	s_movk_i32 s4, 0x7fff
	v_add3_u32 v30, v31, v30, s4
                                        ; implicit-def: $vgpr31
; %bb.359:
	s_andn2_saveexec_b64 s[2:3], s[2:3]
; %bb.360:
	v_mov_b32_e32 v30, 0
	v_or_b32_e32 v33, 0x10000, v31
	v_cmp_eq_u32_sdwa vcc, v31, v30 src0_sel:WORD_0 src1_sel:DWORD
	v_cndmask_b32_e32 v30, v33, v31, vcc
; %bb.361:
	s_or_b64 exec, exec, s[2:3]
	v_lshlrev_b32_e32 v31, 16, v32
	v_add_f32_e32 v33, 0xc3080000, v31
	s_mov_b32 s2, 0x7f800000
	v_and_b32_e32 v31, 0x7f800000, v33
	v_cmp_ne_u32_e32 vcc, s2, v31
                                        ; implicit-def: $vgpr31
	s_and_saveexec_b64 s[2:3], vcc
	s_xor_b64 s[2:3], exec, s[2:3]
; %bb.362:
	v_bfe_u32 v31, v33, 16, 1
	s_movk_i32 s4, 0x7fff
	v_add3_u32 v31, v33, v31, s4
                                        ; implicit-def: $vgpr33
; %bb.363:
	s_andn2_saveexec_b64 s[2:3], s[2:3]
; %bb.364:
	v_mov_b32_e32 v31, 0
	v_or_b32_e32 v34, 0x10000, v33
	v_cmp_eq_u32_sdwa vcc, v33, v31 src0_sel:WORD_0 src1_sel:DWORD
	v_cndmask_b32_e32 v31, v34, v33, vcc
; %bb.365:
	s_or_b64 exec, exec, s[2:3]
	v_and_b32_e32 v32, 0xffff0000, v32
	v_add_f32_e32 v33, 0xc3080000, v32
	s_mov_b32 s2, 0x7f800000
	v_and_b32_e32 v32, 0x7f800000, v33
	v_cmp_ne_u32_e32 vcc, s2, v32
                                        ; implicit-def: $vgpr32
	s_and_saveexec_b64 s[2:3], vcc
	s_xor_b64 s[2:3], exec, s[2:3]
; %bb.366:
	v_bfe_u32 v32, v33, 16, 1
	s_movk_i32 s4, 0x7fff
	v_add3_u32 v32, v33, v32, s4
                                        ; implicit-def: $vgpr33
; %bb.367:
	s_andn2_saveexec_b64 s[2:3], s[2:3]
; %bb.368:
	v_mov_b32_e32 v32, 0
	v_or_b32_e32 v34, 0x10000, v33
	v_cmp_eq_u32_sdwa vcc, v33, v32 src0_sel:WORD_0 src1_sel:DWORD
	v_cndmask_b32_e32 v32, v34, v33, vcc
; %bb.369:
	s_or_b64 exec, exec, s[2:3]
	v_and_b32_e32 v13, 0xffff0000, v13
	v_fma_f32 v33, v13, v15, v12
	s_mov_b32 s2, 0x7f800000
	v_and_b32_e32 v13, 0x7f800000, v33
	v_cmp_ne_u32_e32 vcc, s2, v13
                                        ; implicit-def: $vgpr13
	s_and_saveexec_b64 s[2:3], vcc
	s_xor_b64 s[2:3], exec, s[2:3]
; %bb.370:
	v_bfe_u32 v13, v33, 16, 1
	s_movk_i32 s4, 0x7fff
	v_add3_u32 v13, v33, v13, s4
                                        ; implicit-def: $vgpr33
; %bb.371:
	s_andn2_saveexec_b64 s[2:3], s[2:3]
; %bb.372:
	v_mov_b32_e32 v13, 0
	v_or_b32_e32 v34, 0x10000, v33
	v_cmp_eq_u32_sdwa vcc, v33, v13 src0_sel:WORD_0 src1_sel:DWORD
	v_cndmask_b32_e32 v13, v34, v33, vcc
; %bb.373:
	s_or_b64 exec, exec, s[2:3]
	v_and_b32_e32 v23, 0xffff0000, v23
	v_fma_f32 v33, v23, v15, v12
	s_mov_b32 s2, 0x7f800000
	v_and_b32_e32 v23, 0x7f800000, v33
	v_cmp_ne_u32_e32 vcc, s2, v23
                                        ; implicit-def: $vgpr23
	s_and_saveexec_b64 s[2:3], vcc
	s_xor_b64 s[2:3], exec, s[2:3]
; %bb.374:
	v_bfe_u32 v23, v33, 16, 1
	s_movk_i32 s4, 0x7fff
	v_add3_u32 v23, v33, v23, s4
                                        ; implicit-def: $vgpr33
; %bb.375:
	s_andn2_saveexec_b64 s[2:3], s[2:3]
; %bb.376:
	v_mov_b32_e32 v23, 0
	v_or_b32_e32 v34, 0x10000, v33
	v_cmp_eq_u32_sdwa vcc, v33, v23 src0_sel:WORD_0 src1_sel:DWORD
	v_cndmask_b32_e32 v23, v34, v33, vcc
; %bb.377:
	s_or_b64 exec, exec, s[2:3]
	v_and_b32_e32 v24, 0xffff0000, v24
	v_fma_f32 v33, v24, v15, v12
	s_mov_b32 s2, 0x7f800000
	v_and_b32_e32 v24, 0x7f800000, v33
	v_cmp_ne_u32_e32 vcc, s2, v24
                                        ; implicit-def: $vgpr24
	s_and_saveexec_b64 s[2:3], vcc
	s_xor_b64 s[2:3], exec, s[2:3]
; %bb.378:
	v_bfe_u32 v24, v33, 16, 1
	s_movk_i32 s4, 0x7fff
	v_add3_u32 v24, v33, v24, s4
                                        ; implicit-def: $vgpr33
; %bb.379:
	s_andn2_saveexec_b64 s[2:3], s[2:3]
; %bb.380:
	v_mov_b32_e32 v24, 0
	v_or_b32_e32 v34, 0x10000, v33
	v_cmp_eq_u32_sdwa vcc, v33, v24 src0_sel:WORD_0 src1_sel:DWORD
	v_cndmask_b32_e32 v24, v34, v33, vcc
; %bb.381:
	s_or_b64 exec, exec, s[2:3]
	v_and_b32_e32 v25, 0xffff0000, v25
	v_fma_f32 v33, v25, v15, v12
	s_mov_b32 s2, 0x7f800000
	v_and_b32_e32 v25, 0x7f800000, v33
	v_cmp_ne_u32_e32 vcc, s2, v25
                                        ; implicit-def: $vgpr25
	s_and_saveexec_b64 s[2:3], vcc
	s_xor_b64 s[2:3], exec, s[2:3]
; %bb.382:
	v_bfe_u32 v25, v33, 16, 1
	s_movk_i32 s4, 0x7fff
	v_add3_u32 v25, v33, v25, s4
                                        ; implicit-def: $vgpr33
; %bb.383:
	s_andn2_saveexec_b64 s[2:3], s[2:3]
; %bb.384:
	v_mov_b32_e32 v25, 0
	v_or_b32_e32 v34, 0x10000, v33
	v_cmp_eq_u32_sdwa vcc, v33, v25 src0_sel:WORD_0 src1_sel:DWORD
	v_cndmask_b32_e32 v25, v34, v33, vcc
; %bb.385:
	s_or_b64 exec, exec, s[2:3]
	v_and_b32_e32 v29, 0xffff0000, v29
	v_fma_f32 v33, v29, v15, v12
	s_mov_b32 s2, 0x7f800000
	v_and_b32_e32 v29, 0x7f800000, v33
	v_cmp_ne_u32_e32 vcc, s2, v29
                                        ; implicit-def: $vgpr29
	s_and_saveexec_b64 s[2:3], vcc
	s_xor_b64 s[2:3], exec, s[2:3]
; %bb.386:
	v_bfe_u32 v29, v33, 16, 1
	s_movk_i32 s4, 0x7fff
	v_add3_u32 v29, v33, v29, s4
                                        ; implicit-def: $vgpr33
; %bb.387:
	s_andn2_saveexec_b64 s[2:3], s[2:3]
; %bb.388:
	v_mov_b32_e32 v29, 0
	v_or_b32_e32 v34, 0x10000, v33
	v_cmp_eq_u32_sdwa vcc, v33, v29 src0_sel:WORD_0 src1_sel:DWORD
	v_cndmask_b32_e32 v29, v34, v33, vcc
; %bb.389:
	s_or_b64 exec, exec, s[2:3]
	v_and_b32_e32 v30, 0xffff0000, v30
	v_fma_f32 v33, v30, v15, v12
	s_mov_b32 s2, 0x7f800000
	v_and_b32_e32 v30, 0x7f800000, v33
	v_cmp_ne_u32_e32 vcc, s2, v30
                                        ; implicit-def: $vgpr30
	s_and_saveexec_b64 s[2:3], vcc
	s_xor_b64 s[2:3], exec, s[2:3]
; %bb.390:
	v_bfe_u32 v30, v33, 16, 1
	s_movk_i32 s4, 0x7fff
	v_add3_u32 v30, v33, v30, s4
                                        ; implicit-def: $vgpr33
; %bb.391:
	s_andn2_saveexec_b64 s[2:3], s[2:3]
; %bb.392:
	v_mov_b32_e32 v30, 0
	v_or_b32_e32 v34, 0x10000, v33
	v_cmp_eq_u32_sdwa vcc, v33, v30 src0_sel:WORD_0 src1_sel:DWORD
	v_cndmask_b32_e32 v30, v34, v33, vcc
; %bb.393:
	s_or_b64 exec, exec, s[2:3]
	v_and_b32_e32 v31, 0xffff0000, v31
	v_fma_f32 v33, v31, v15, v12
	s_mov_b32 s2, 0x7f800000
	v_and_b32_e32 v31, 0x7f800000, v33
	v_cmp_ne_u32_e32 vcc, s2, v31
                                        ; implicit-def: $vgpr31
	s_and_saveexec_b64 s[2:3], vcc
	s_xor_b64 s[2:3], exec, s[2:3]
; %bb.394:
	v_bfe_u32 v31, v33, 16, 1
	s_movk_i32 s4, 0x7fff
	v_add3_u32 v31, v33, v31, s4
                                        ; implicit-def: $vgpr33
; %bb.395:
	s_andn2_saveexec_b64 s[2:3], s[2:3]
; %bb.396:
	v_mov_b32_e32 v31, 0
	v_or_b32_e32 v34, 0x10000, v33
	v_cmp_eq_u32_sdwa vcc, v33, v31 src0_sel:WORD_0 src1_sel:DWORD
	v_cndmask_b32_e32 v31, v34, v33, vcc
; %bb.397:
	s_or_b64 exec, exec, s[2:3]
	v_and_b32_e32 v32, 0xffff0000, v32
	v_fmac_f32_e32 v12, v32, v15
	s_mov_b32 s2, 0x7f800000
	v_and_b32_e32 v15, 0x7f800000, v12
	v_cmp_ne_u32_e32 vcc, s2, v15
                                        ; implicit-def: $vgpr15
	s_and_saveexec_b64 s[2:3], vcc
	s_xor_b64 s[2:3], exec, s[2:3]
; %bb.398:
	v_bfe_u32 v15, v12, 16, 1
	s_movk_i32 s4, 0x7fff
	v_add3_u32 v15, v12, v15, s4
                                        ; implicit-def: $vgpr12
; %bb.399:
	s_andn2_saveexec_b64 s[2:3], s[2:3]
; %bb.400:
	v_mov_b32_e32 v15, 0
	v_or_b32_e32 v32, 0x10000, v12
	v_cmp_eq_u32_sdwa vcc, v12, v15 src0_sel:WORD_0 src1_sel:DWORD
	v_cndmask_b32_e32 v15, v32, v12, vcc
; %bb.401:
	s_or_b64 exec, exec, s[2:3]
	s_mov_b32 s2, 0x3020706
	v_perm_b32 v17, v17, v18, s2
	v_perm_b32 v16, v14, v16, s2
	;; [unrolled: 1-line block ×3, first 2 shown]
	s_nop 0
	v_mfma_f32_16x16x16bf16_1k v[32:35], v[10:11], v[16:17], 0
	v_perm_b32 v11, v21, v22, s2
	v_perm_b32 v10, v19, v20, s2
	;; [unrolled: 1-line block ×5, first 2 shown]
	s_nop 5
	v_pk_add_f32 v[2:3], v[2:3], v[34:35]
	v_mfma_f32_16x16x16bf16_1k v[8:11], v[8:9], v[10:11], 0
	v_pk_add_f32 v[0:1], v[0:1], v[32:33]
	v_mfma_f32_16x16x16bf16_1k v[12:15], v[4:5], v[16:17], 0
	s_nop 7
	s_nop 0
	v_pk_add_f32 v[2:3], v[2:3], v[10:11]
	v_pk_add_f32 v[0:1], v[0:1], v[8:9]
	;; [unrolled: 1-line block ×4, first 2 shown]
	v_mfma_f32_16x16x16bf16_1k v[0:3], v[6:7], v[18:19], 0
	s_nop 7
	s_nop 2
	v_pk_add_f32 v[2:3], v[4:5], v[2:3]
	v_pk_add_f32 v[0:1], v[8:9], v[0:1]
.LBB10_402:
	s_or_b64 exec, exec, s[0:1]
	v_lshlrev_b32_e32 v29, 4, v26
	v_lshl_add_u32 v4, v28, 10, v29
	v_cmp_eq_u32_e32 vcc, 0, v28
	ds_write_b128 v4, v[0:3]
	s_waitcnt lgkmcnt(0)
	s_barrier
	s_and_saveexec_b64 s[0:1], vcc
	s_cbranch_execz .LBB10_427
; %bb.403:
	v_add_u32_e32 v0, 12, v29
	v_add_u32_e32 v1, 0x404, v29
	;; [unrolled: 1-line block ×4, first 2 shown]
	ds_read2st64_b32 v[2:3], v0 offset1:4
	ds_read2st64_b32 v[4:5], v0 offset0:8 offset1:12
	ds_read2_b32 v[10:11], v29 offset0:1 offset1:2
	ds_read2_b32 v[12:13], v1 offset1:1
	ds_read2_b32 v[14:15], v6 offset1:1
	;; [unrolled: 1-line block ×3, first 2 shown]
	v_add_u32_e32 v1, 0x1004, v29
	ds_read2st64_b32 v[6:7], v0 offset0:16 offset1:20
	v_add_u32_e32 v20, 0x1404, v29
	v_add_u32_e32 v22, 0x1804, v29
	ds_read2st64_b32 v[8:9], v0 offset0:24 offset1:28
	v_add_u32_e32 v0, 0x1c04, v29
	ds_read2_b32 v[18:19], v1 offset1:1
	ds_read2_b32 v[20:21], v20 offset1:1
	;; [unrolled: 1-line block ×4, first 2 shown]
	v_and_b32_e32 v0, 0xfc, v27
	v_lshl_add_u32 v27, s8, 4, v0
	v_mul_lo_u32 v30, v27, s17
	v_ashrrev_i32_e32 v31, 31, v30
	s_lshl_b32 s0, s7, 4
	v_lshlrev_b64 v[30:31], 1, v[30:31]
	v_and_or_b32 v0, v26, 15, s0
	v_mov_b32_e32 v1, s15
	v_add_co_u32_e32 v26, vcc, s14, v30
	v_addc_co_u32_e32 v28, vcc, v1, v31, vcc
	v_ashrrev_i32_e32 v1, 31, v0
	v_lshlrev_b64 v[0:1], 1, v[0:1]
	v_add_co_u32_e32 v0, vcc, v26, v0
	v_addc_co_u32_e32 v1, vcc, v28, v1, vcc
	v_cmp_gt_i32_e32 vcc, s16, v27
	s_and_saveexec_b64 s[0:1], vcc
	s_cbranch_execz .LBB10_409
; %bb.404:
	ds_read2st64_b32 v[30:31], v29 offset1:4
	ds_read2st64_b32 v[32:33], v29 offset0:8 offset1:12
	ds_read2st64_b32 v[34:35], v29 offset0:16 offset1:20
	;; [unrolled: 1-line block ×3, first 2 shown]
	s_mov_b32 s2, 0x7f800000
	s_waitcnt lgkmcnt(3)
	v_add_f32_e32 v26, 0, v30
	v_add_f32_e32 v26, v26, v31
	s_waitcnt lgkmcnt(2)
	v_add_f32_e32 v26, v26, v32
	v_add_f32_e32 v26, v26, v33
	;; [unrolled: 3-line block ×4, first 2 shown]
	v_and_b32_e32 v28, 0x7f800000, v26
	v_cmp_ne_u32_e32 vcc, s2, v28
                                        ; implicit-def: $vgpr28
	s_and_saveexec_b64 s[2:3], vcc
	s_xor_b64 s[2:3], exec, s[2:3]
; %bb.405:
	v_bfe_u32 v28, v26, 16, 1
	s_movk_i32 s4, 0x7fff
	v_add3_u32 v28, v26, v28, s4
                                        ; implicit-def: $vgpr26
; %bb.406:
	s_andn2_saveexec_b64 s[2:3], s[2:3]
; %bb.407:
	v_mov_b32_e32 v28, 0
	v_or_b32_e32 v29, 0x10000, v26
	v_cmp_eq_u32_sdwa vcc, v26, v28 src0_sel:WORD_0 src1_sel:DWORD
	v_cndmask_b32_e32 v28, v29, v26, vcc
; %bb.408:
	s_or_b64 exec, exec, s[2:3]
	global_store_short_d16_hi v[0:1], v28, off
.LBB10_409:
	s_or_b64 exec, exec, s[0:1]
	v_or_b32_e32 v26, 1, v27
	v_cmp_gt_i32_e32 vcc, s16, v26
	s_and_saveexec_b64 s[0:1], vcc
	s_cbranch_execz .LBB10_415
; %bb.410:
	s_waitcnt lgkmcnt(9)
	v_add_f32_e32 v10, 0, v10
	s_waitcnt lgkmcnt(8)
	v_add_f32_e32 v10, v10, v12
	;; [unrolled: 2-line block ×8, first 2 shown]
	s_mov_b32 s2, 0x7f800000
	v_and_b32_e32 v10, 0x7f800000, v12
	v_cmp_ne_u32_e32 vcc, s2, v10
                                        ; implicit-def: $vgpr10
	s_and_saveexec_b64 s[2:3], vcc
	s_xor_b64 s[2:3], exec, s[2:3]
; %bb.411:
	v_bfe_u32 v10, v12, 16, 1
	s_movk_i32 s4, 0x7fff
	v_add3_u32 v10, v12, v10, s4
                                        ; implicit-def: $vgpr12
; %bb.412:
	s_andn2_saveexec_b64 s[2:3], s[2:3]
; %bb.413:
	v_mov_b32_e32 v10, 0
	v_or_b32_e32 v14, 0x10000, v12
	v_cmp_eq_u32_sdwa vcc, v12, v10 src0_sel:WORD_0 src1_sel:DWORD
	v_cndmask_b32_e32 v10, v14, v12, vcc
; %bb.414:
	s_or_b64 exec, exec, s[2:3]
	s_ashr_i32 s3, s17, 31
	s_mov_b32 s2, s17
	s_lshl_b64 s[2:3], s[2:3], 1
	v_mov_b32_e32 v12, s3
	v_add_co_u32_e32 v28, vcc, s2, v0
	v_addc_co_u32_e32 v29, vcc, v1, v12, vcc
	global_store_short_d16_hi v[28:29], v10, off
.LBB10_415:
	s_or_b64 exec, exec, s[0:1]
	s_waitcnt lgkmcnt(9)
	v_or_b32_e32 v10, 2, v27
	v_cmp_gt_i32_e32 vcc, s16, v10
	s_and_saveexec_b64 s[0:1], vcc
	s_cbranch_execz .LBB10_421
; %bb.416:
	v_add_f32_e32 v10, 0, v11
	s_waitcnt lgkmcnt(8)
	v_add_f32_e32 v10, v10, v13
	s_waitcnt lgkmcnt(7)
	;; [unrolled: 2-line block ×7, first 2 shown]
	v_add_f32_e32 v11, v10, v25
	s_mov_b32 s2, 0x7f800000
	v_and_b32_e32 v10, 0x7f800000, v11
	v_cmp_ne_u32_e32 vcc, s2, v10
                                        ; implicit-def: $vgpr10
	s_and_saveexec_b64 s[2:3], vcc
	s_xor_b64 s[2:3], exec, s[2:3]
; %bb.417:
	v_bfe_u32 v10, v11, 16, 1
	s_movk_i32 s4, 0x7fff
	v_add3_u32 v10, v11, v10, s4
                                        ; implicit-def: $vgpr11
; %bb.418:
	s_andn2_saveexec_b64 s[2:3], s[2:3]
; %bb.419:
	v_mov_b32_e32 v10, 0
	v_or_b32_e32 v12, 0x10000, v11
	v_cmp_eq_u32_sdwa vcc, v11, v10 src0_sel:WORD_0 src1_sel:DWORD
	v_cndmask_b32_e32 v10, v12, v11, vcc
; %bb.420:
	s_or_b64 exec, exec, s[2:3]
	s_lshl_b32 s2, s17, 1
	s_ashr_i32 s3, s2, 31
	s_lshl_b64 s[2:3], s[2:3], 1
	v_mov_b32_e32 v11, s3
	v_add_co_u32_e32 v12, vcc, s2, v0
	v_addc_co_u32_e32 v13, vcc, v1, v11, vcc
	global_store_short_d16_hi v[12:13], v10, off
.LBB10_421:
	s_or_b64 exec, exec, s[0:1]
	v_or_b32_e32 v10, 3, v27
	v_cmp_gt_i32_e32 vcc, s16, v10
	s_and_b64 exec, exec, vcc
	s_cbranch_execz .LBB10_427
; %bb.422:
	v_add_f32_e32 v2, 0, v2
	v_add_f32_e32 v2, v2, v3
	;; [unrolled: 1-line block ×4, first 2 shown]
	s_waitcnt lgkmcnt(5)
	v_add_f32_e32 v2, v2, v6
	v_add_f32_e32 v2, v2, v7
	s_waitcnt lgkmcnt(4)
	v_add_f32_e32 v2, v2, v8
	v_add_f32_e32 v3, v2, v9
	s_mov_b32 s0, 0x7f800000
	v_and_b32_e32 v2, 0x7f800000, v3
	v_cmp_ne_u32_e32 vcc, s0, v2
                                        ; implicit-def: $vgpr2
	s_and_saveexec_b64 s[0:1], vcc
	s_xor_b64 s[0:1], exec, s[0:1]
; %bb.423:
	v_bfe_u32 v2, v3, 16, 1
	s_movk_i32 s2, 0x7fff
	v_add3_u32 v2, v3, v2, s2
                                        ; implicit-def: $vgpr3
; %bb.424:
	s_andn2_saveexec_b64 s[0:1], s[0:1]
; %bb.425:
	v_mov_b32_e32 v2, 0
	v_or_b32_e32 v4, 0x10000, v3
	v_cmp_eq_u32_sdwa vcc, v3, v2 src0_sel:WORD_0 src1_sel:DWORD
	v_cndmask_b32_e32 v2, v4, v3, vcc
; %bb.426:
	s_or_b64 exec, exec, s[0:1]
	s_mul_i32 s0, s17, 3
	s_ashr_i32 s1, s0, 31
	s_lshl_b64 s[0:1], s[0:1], 1
	v_mov_b32_e32 v3, s1
	v_add_co_u32_e32 v0, vcc, s0, v0
	v_addc_co_u32_e32 v1, vcc, v1, v3, vcc
	global_store_short_d16_hi v[0:1], v2, off
.LBB10_427:
	s_endpgm
	.section	.rodata,"a",@progbits
	.p2align	6, 0x0
	.amdhsa_kernel _ZN2at6native30tinygemm_m16n8k16_chunk_kernelINS0_10ALayout_RMILNS0_14KReductionTypeE0EEENS0_15BLayout_TC_int4ILi4ELi256EEES4_Li8ELi8EEEvPKvS8_S8_Pviiiiii
		.amdhsa_group_segment_fixed_size 8192
		.amdhsa_private_segment_fixed_size 0
		.amdhsa_kernarg_size 56
		.amdhsa_user_sgpr_count 6
		.amdhsa_user_sgpr_private_segment_buffer 1
		.amdhsa_user_sgpr_dispatch_ptr 0
		.amdhsa_user_sgpr_queue_ptr 0
		.amdhsa_user_sgpr_kernarg_segment_ptr 1
		.amdhsa_user_sgpr_dispatch_id 0
		.amdhsa_user_sgpr_flat_scratch_init 0
		.amdhsa_user_sgpr_kernarg_preload_length 0
		.amdhsa_user_sgpr_kernarg_preload_offset 0
		.amdhsa_user_sgpr_private_segment_size 0
		.amdhsa_uses_dynamic_stack 0
		.amdhsa_system_sgpr_private_segment_wavefront_offset 0
		.amdhsa_system_sgpr_workgroup_id_x 1
		.amdhsa_system_sgpr_workgroup_id_y 1
		.amdhsa_system_sgpr_workgroup_id_z 1
		.amdhsa_system_sgpr_workgroup_info 0
		.amdhsa_system_vgpr_workitem_id 1
		.amdhsa_next_free_vgpr 70
		.amdhsa_next_free_sgpr 30
		.amdhsa_accum_offset 72
		.amdhsa_reserve_vcc 1
		.amdhsa_reserve_flat_scratch 0
		.amdhsa_float_round_mode_32 0
		.amdhsa_float_round_mode_16_64 0
		.amdhsa_float_denorm_mode_32 3
		.amdhsa_float_denorm_mode_16_64 3
		.amdhsa_dx10_clamp 1
		.amdhsa_ieee_mode 1
		.amdhsa_fp16_overflow 0
		.amdhsa_tg_split 0
		.amdhsa_exception_fp_ieee_invalid_op 0
		.amdhsa_exception_fp_denorm_src 0
		.amdhsa_exception_fp_ieee_div_zero 0
		.amdhsa_exception_fp_ieee_overflow 0
		.amdhsa_exception_fp_ieee_underflow 0
		.amdhsa_exception_fp_ieee_inexact 0
		.amdhsa_exception_int_div_zero 0
	.end_amdhsa_kernel
	.section	.text._ZN2at6native30tinygemm_m16n8k16_chunk_kernelINS0_10ALayout_RMILNS0_14KReductionTypeE0EEENS0_15BLayout_TC_int4ILi4ELi256EEES4_Li8ELi8EEEvPKvS8_S8_Pviiiiii,"axG",@progbits,_ZN2at6native30tinygemm_m16n8k16_chunk_kernelINS0_10ALayout_RMILNS0_14KReductionTypeE0EEENS0_15BLayout_TC_int4ILi4ELi256EEES4_Li8ELi8EEEvPKvS8_S8_Pviiiiii,comdat
.Lfunc_end10:
	.size	_ZN2at6native30tinygemm_m16n8k16_chunk_kernelINS0_10ALayout_RMILNS0_14KReductionTypeE0EEENS0_15BLayout_TC_int4ILi4ELi256EEES4_Li8ELi8EEEvPKvS8_S8_Pviiiiii, .Lfunc_end10-_ZN2at6native30tinygemm_m16n8k16_chunk_kernelINS0_10ALayout_RMILNS0_14KReductionTypeE0EEENS0_15BLayout_TC_int4ILi4ELi256EEES4_Li8ELi8EEEvPKvS8_S8_Pviiiiii
                                        ; -- End function
	.section	.AMDGPU.csdata,"",@progbits
; Kernel info:
; codeLenInByte = 11516
; NumSgprs: 34
; NumVgprs: 70
; NumAgprs: 0
; TotalNumVgprs: 70
; ScratchSize: 0
; MemoryBound: 0
; FloatMode: 240
; IeeeMode: 1
; LDSByteSize: 8192 bytes/workgroup (compile time only)
; SGPRBlocks: 4
; VGPRBlocks: 8
; NumSGPRsForWavesPerEU: 34
; NumVGPRsForWavesPerEU: 70
; AccumOffset: 72
; Occupancy: 7
; WaveLimiterHint : 1
; COMPUTE_PGM_RSRC2:SCRATCH_EN: 0
; COMPUTE_PGM_RSRC2:USER_SGPR: 6
; COMPUTE_PGM_RSRC2:TRAP_HANDLER: 0
; COMPUTE_PGM_RSRC2:TGID_X_EN: 1
; COMPUTE_PGM_RSRC2:TGID_Y_EN: 1
; COMPUTE_PGM_RSRC2:TGID_Z_EN: 1
; COMPUTE_PGM_RSRC2:TIDIG_COMP_CNT: 1
; COMPUTE_PGM_RSRC3_GFX90A:ACCUM_OFFSET: 17
; COMPUTE_PGM_RSRC3_GFX90A:TG_SPLIT: 0
	.section	.text._ZN2at6native30tinygemm_m16n8k16_chunk_kernelINS0_10ALayout_RMILNS0_14KReductionTypeE0EEENS0_15BLayout_TC_int4ILi8ELi256EEES4_Li8ELi8EEEvPKvS8_S8_Pviiiiii,"axG",@progbits,_ZN2at6native30tinygemm_m16n8k16_chunk_kernelINS0_10ALayout_RMILNS0_14KReductionTypeE0EEENS0_15BLayout_TC_int4ILi8ELi256EEES4_Li8ELi8EEEvPKvS8_S8_Pviiiiii,comdat
	.protected	_ZN2at6native30tinygemm_m16n8k16_chunk_kernelINS0_10ALayout_RMILNS0_14KReductionTypeE0EEENS0_15BLayout_TC_int4ILi8ELi256EEES4_Li8ELi8EEEvPKvS8_S8_Pviiiiii ; -- Begin function _ZN2at6native30tinygemm_m16n8k16_chunk_kernelINS0_10ALayout_RMILNS0_14KReductionTypeE0EEENS0_15BLayout_TC_int4ILi8ELi256EEES4_Li8ELi8EEEvPKvS8_S8_Pviiiiii
	.globl	_ZN2at6native30tinygemm_m16n8k16_chunk_kernelINS0_10ALayout_RMILNS0_14KReductionTypeE0EEENS0_15BLayout_TC_int4ILi8ELi256EEES4_Li8ELi8EEEvPKvS8_S8_Pviiiiii
	.p2align	8
	.type	_ZN2at6native30tinygemm_m16n8k16_chunk_kernelINS0_10ALayout_RMILNS0_14KReductionTypeE0EEENS0_15BLayout_TC_int4ILi8ELi256EEES4_Li8ELi8EEEvPKvS8_S8_Pviiiiii,@function
_ZN2at6native30tinygemm_m16n8k16_chunk_kernelINS0_10ALayout_RMILNS0_14KReductionTypeE0EEENS0_15BLayout_TC_int4ILi8ELi256EEES4_Li8ELi8EEEvPKvS8_S8_Pviiiiii: ; @_ZN2at6native30tinygemm_m16n8k16_chunk_kernelINS0_10ALayout_RMILNS0_14KReductionTypeE0EEENS0_15BLayout_TC_int4ILi8ELi256EEES4_Li8ELi8EEEvPKvS8_S8_Pviiiiii
; %bb.0:
	s_load_dwordx2 s[2:3], s[4:5], 0x30
	s_load_dwordx4 s[20:23], s[4:5], 0x0
	s_load_dwordx8 s[12:19], s[4:5], 0x10
	v_bfe_u32 v28, v0, 10, 10
	s_mov_b32 s24, 0
	s_waitcnt lgkmcnt(0)
	s_ashr_i32 s0, s3, 31
	s_lshr_b32 s0, s0, 29
	s_add_i32 s0, s3, s0
	v_lshlrev_b32_e32 v31, 3, v28
	s_mov_b32 s25, s24
	v_and_b32_e32 v26, 0x3ff, v0
	s_ashr_i32 s9, s0, 3
	s_and_b32 s19, s0, -8
	v_lshl_add_u32 v32, s6, 6, v31
	s_mov_b32 s26, s24
	s_mov_b32 s27, s24
	v_pk_mov_b32 v[0:1], s[24:25], s[24:25] op_sel:[0,1]
	v_cmp_gt_i32_e32 vcc, s19, v32
	v_pk_mov_b32 v[2:3], s[26:27], s[26:27] op_sel:[0,1]
	s_mul_i32 s9, s9, s7
	v_and_b32_e32 v29, 15, v26
	v_lshrrev_b32_e32 v27, 2, v26
	v_lshlrev_b32_e32 v30, 2, v26
	s_and_saveexec_b64 s[4:5], vcc
	s_cbranch_execz .LBB11_268
; %bb.1:
	v_lshl_or_b32 v2, s8, 4, v29
	v_mul_lo_u32 v0, v2, s18
	v_ashrrev_i32_e32 v1, 31, v0
	v_lshlrev_b64 v[0:1], 1, v[0:1]
	v_mov_b32_e32 v4, s21
	v_add_co_u32_e32 v33, vcc, s20, v0
	v_and_b32_e32 v3, 0xfc, v27
	v_addc_co_u32_e32 v34, vcc, v4, v1, vcc
	s_lshl_b32 s0, s6, 10
	v_lshlrev_b32_e32 v0, 7, v28
	v_mov_b32_e32 v36, 0
	v_cmp_gt_i32_e32 vcc, s16, v2
	v_lshl_or_b32 v35, s7, 4, v29
	s_lshl_b32 s26, s2, 4
	v_add3_u32 v8, s0, v0, v3
	s_mov_b64 s[10:11], 0
	v_mov_b32_e32 v37, 0xf000f
	v_mov_b32_e32 v38, 0x43004300
	s_mov_b32 s6, 0x7f800000
	s_movk_i32 s27, 0x7fff
	s_mov_b32 s28, 0x3020706
	v_mov_b32_e32 v0, 0
	v_mov_b32_e32 v1, v36
	;; [unrolled: 1-line block ×4, first 2 shown]
	s_branch .LBB11_3
.LBB11_2:                               ;   in Loop: Header=BB11_3 Depth=1
	s_or_b64 exec, exec, s[24:25]
	v_perm_b32 v69, v41, v42, s28
	v_perm_b32 v68, v4, v39, s28
	v_perm_b32 v42, v5, v47, s28
	v_perm_b32 v5, v52, v53, s28
	v_mfma_f32_16x16x16bf16_1k v[68:71], v[12:13], v[68:69], 0
	v_perm_b32 v13, v45, v46, s28
	v_perm_b32 v12, v43, v44, s28
	;; [unrolled: 1-line block ×6, first 2 shown]
	v_add_u32_e32 v32, 64, v32
	v_mfma_f32_16x16x16bf16_1k v[10:13], v[10:11], v[12:13], 0
	s_nop 2
	v_pk_add_f32 v[2:3], v[2:3], v[70:71]
	v_pk_add_f32 v[0:1], v[0:1], v[68:69]
	v_cmp_le_i32_e64 s[0:1], s19, v32
	s_or_b64 s[10:11], s[0:1], s[10:11]
	v_add_u32_e32 v8, 0x400, v8
	s_nop 2
	v_pk_add_f32 v[2:3], v[2:3], v[12:13]
	v_mfma_f32_16x16x16bf16_1k v[42:45], v[20:21], v[42:43], 0
	v_pk_add_f32 v[0:1], v[0:1], v[10:11]
	v_mfma_f32_16x16x16bf16_1k v[18:21], v[18:19], v[4:5], 0
	v_perm_b32 v5, v55, v56, s28
	v_perm_b32 v4, v6, v54, s28
	s_nop 6
	v_pk_add_f32 v[2:3], v[2:3], v[44:45]
	v_pk_add_f32 v[10:11], v[0:1], v[42:43]
	v_mfma_f32_16x16x16bf16_1k v[46:49], v[14:15], v[4:5], 0
	v_perm_b32 v5, v59, v60, s28
	v_perm_b32 v4, v57, v58, s28
	;; [unrolled: 1-line block ×4, first 2 shown]
	v_pk_add_f32 v[12:13], v[2:3], v[20:21]
	v_pk_add_f32 v[10:11], v[10:11], v[18:19]
	s_nop 4
	v_pk_add_f32 v[12:13], v[12:13], v[48:49]
	v_mfma_f32_16x16x16bf16_1k v[4:7], v[24:25], v[4:5], 0
	v_pk_add_f32 v[10:11], v[10:11], v[46:47]
	v_mfma_f32_16x16x16bf16_1k v[0:3], v[22:23], v[14:15], 0
	s_nop 7
	s_nop 0
	v_pk_add_f32 v[6:7], v[12:13], v[6:7]
	v_pk_add_f32 v[4:5], v[10:11], v[4:5]
	;; [unrolled: 1-line block ×4, first 2 shown]
	v_mfma_f32_16x16x16bf16_1k v[0:3], v[16:17], v[40:41], 0
	s_nop 7
	s_nop 2
	v_pk_add_f32 v[2:3], v[6:7], v[2:3]
	v_pk_add_f32 v[0:1], v[4:5], v[0:1]
	s_andn2_b64 exec, exec, s[10:11]
	s_cbranch_execz .LBB11_267
.LBB11_3:                               ; =>This Inner Loop Header: Depth=1
	v_ashrrev_i32_e32 v9, 31, v8
	v_lshlrev_b64 v[4:5], 1, v[8:9]
	v_add_co_u32_e64 v4, s[0:1], v33, v4
	v_addc_co_u32_e64 v5, s[0:1], v34, v5, s[0:1]
	v_mov_b32_e32 v12, 0
	v_mov_b32_e32 v13, 0
	;; [unrolled: 1-line block ×4, first 2 shown]
	s_and_saveexec_b64 s[0:1], vcc
	s_cbranch_execz .LBB11_5
; %bb.4:                                ;   in Loop: Header=BB11_3 Depth=1
	global_load_dwordx2 v[12:13], v[4:5], off
	global_load_dwordx2 v[10:11], v[4:5], off offset:32
.LBB11_5:                               ;   in Loop: Header=BB11_3 Depth=1
	s_or_b64 exec, exec, s[0:1]
	v_mov_b32_e32 v14, 0
	v_mov_b32_e32 v20, 0
	;; [unrolled: 1-line block ×5, first 2 shown]
	s_and_saveexec_b64 s[0:1], vcc
	s_cbranch_execz .LBB11_7
; %bb.6:                                ;   in Loop: Header=BB11_3 Depth=1
	global_load_dwordx2 v[20:21], v[4:5], off offset:64
	global_load_dwordx2 v[18:19], v[4:5], off offset:96
.LBB11_7:                               ;   in Loop: Header=BB11_3 Depth=1
	s_or_b64 exec, exec, s[0:1]
	v_mov_b32_e32 v15, 0
	v_mov_b32_e32 v24, 0
	v_mov_b32_e32 v25, 0
	s_and_saveexec_b64 s[0:1], vcc
	s_cbranch_execz .LBB11_9
; %bb.8:                                ;   in Loop: Header=BB11_3 Depth=1
	global_load_dwordx2 v[14:15], v[4:5], off offset:128
	global_load_dwordx2 v[24:25], v[4:5], off offset:160
.LBB11_9:                               ;   in Loop: Header=BB11_3 Depth=1
	s_or_b64 exec, exec, s[0:1]
	v_mov_b32_e32 v22, 0
	v_mov_b32_e32 v23, 0
	;; [unrolled: 1-line block ×4, first 2 shown]
	s_and_saveexec_b64 s[0:1], vcc
	s_cbranch_execz .LBB11_11
; %bb.10:                               ;   in Loop: Header=BB11_3 Depth=1
	global_load_dwordx2 v[22:23], v[4:5], off offset:192
	global_load_dwordx2 v[16:17], v[4:5], off offset:224
.LBB11_11:                              ;   in Loop: Header=BB11_3 Depth=1
	s_or_b64 exec, exec, s[0:1]
	v_lshrrev_b32_e32 v4, 3, v32
	v_add_u32_e32 v4, s9, v4
	v_lshl_add_u32 v4, v4, 8, v30
	v_ashrrev_i32_e32 v9, 31, v32
	v_ashrrev_i32_e32 v5, 31, v4
	v_lshrrev_b32_e32 v9, 28, v9
	v_lshlrev_b64 v[4:5], 2, v[4:5]
	v_add_u32_e32 v9, v32, v9
	v_mov_b32_e32 v6, s23
	v_add_co_u32_e64 v4, s[0:1], s22, v4
	v_ashrrev_i32_e32 v9, 4, v9
	v_addc_co_u32_e64 v5, s[0:1], v6, v5, s[0:1]
	v_mul_lo_u32 v9, s26, v9
	global_load_dwordx4 v[4:7], v[4:5], off
	v_add_lshl_u32 v40, v35, v9, 1
	v_ashrrev_i32_e32 v41, 31, v40
	v_lshlrev_b64 v[40:41], 1, v[40:41]
	v_mov_b32_e32 v9, s13
	v_add_co_u32_e64 v40, s[0:1], s12, v40
	v_addc_co_u32_e64 v41, s[0:1], v9, v41, s[0:1]
	global_load_dword v9, v[40:41], off
	s_waitcnt vmcnt(1)
	;;#ASMSTART
	v_and_or_b32 v39, v4, v37, v38
	;;#ASMEND
	v_lshrrev_b32_e32 v40, 4, v4
	v_lshrrev_b32_e32 v41, 8, v4
	;; [unrolled: 1-line block ×3, first 2 shown]
	;;#ASMSTART
	v_and_or_b32 v42, v40, v37, v38
	;;#ASMEND
	;;#ASMSTART
	v_and_or_b32 v44, v41, v37, v38
	;;#ASMEND
	;; [unrolled: 3-line block ×3, first 2 shown]
	v_lshlrev_b32_e32 v4, 16, v39
	v_add_f32_e32 v41, 0xc3080000, v4
	v_and_b32_e32 v4, 0x7f800000, v41
	v_cmp_ne_u32_e64 s[0:1], s6, v4
                                        ; implicit-def: $vgpr4
	s_and_saveexec_b64 s[24:25], s[0:1]
	s_xor_b64 s[0:1], exec, s[24:25]
; %bb.12:                               ;   in Loop: Header=BB11_3 Depth=1
	v_bfe_u32 v4, v41, 16, 1
	v_add3_u32 v4, v41, v4, s27
                                        ; implicit-def: $vgpr41
; %bb.13:                               ;   in Loop: Header=BB11_3 Depth=1
	s_andn2_saveexec_b64 s[24:25], s[0:1]
; %bb.14:                               ;   in Loop: Header=BB11_3 Depth=1
	v_or_b32_e32 v4, 0x10000, v41
	v_cmp_eq_u32_sdwa s[0:1], v41, v36 src0_sel:WORD_0 src1_sel:DWORD
	v_cndmask_b32_e64 v4, v4, v41, s[0:1]
; %bb.15:                               ;   in Loop: Header=BB11_3 Depth=1
	s_or_b64 exec, exec, s[24:25]
	v_and_b32_e32 v39, 0xffff0000, v39
	v_add_f32_e32 v41, 0xc3080000, v39
	v_and_b32_e32 v39, 0x7f800000, v41
	v_cmp_ne_u32_e64 s[0:1], s6, v39
                                        ; implicit-def: $vgpr39
	s_and_saveexec_b64 s[24:25], s[0:1]
	s_xor_b64 s[0:1], exec, s[24:25]
; %bb.16:                               ;   in Loop: Header=BB11_3 Depth=1
	v_bfe_u32 v39, v41, 16, 1
	v_add3_u32 v39, v41, v39, s27
                                        ; implicit-def: $vgpr41
; %bb.17:                               ;   in Loop: Header=BB11_3 Depth=1
	s_andn2_saveexec_b64 s[24:25], s[0:1]
; %bb.18:                               ;   in Loop: Header=BB11_3 Depth=1
	v_or_b32_e32 v39, 0x10000, v41
	v_cmp_eq_u32_sdwa s[0:1], v41, v36 src0_sel:WORD_0 src1_sel:DWORD
	v_cndmask_b32_e64 v39, v39, v41, s[0:1]
; %bb.19:                               ;   in Loop: Header=BB11_3 Depth=1
	s_or_b64 exec, exec, s[24:25]
	v_lshlrev_b32_e32 v41, 16, v42
	v_add_f32_e32 v43, 0xc3080000, v41
	v_and_b32_e32 v41, 0x7f800000, v43
	v_cmp_ne_u32_e64 s[0:1], s6, v41
                                        ; implicit-def: $vgpr41
	s_and_saveexec_b64 s[24:25], s[0:1]
	s_xor_b64 s[0:1], exec, s[24:25]
; %bb.20:                               ;   in Loop: Header=BB11_3 Depth=1
	v_bfe_u32 v41, v43, 16, 1
	v_add3_u32 v41, v43, v41, s27
                                        ; implicit-def: $vgpr43
; %bb.21:                               ;   in Loop: Header=BB11_3 Depth=1
	s_andn2_saveexec_b64 s[24:25], s[0:1]
; %bb.22:                               ;   in Loop: Header=BB11_3 Depth=1
	v_or_b32_e32 v41, 0x10000, v43
	v_cmp_eq_u32_sdwa s[0:1], v43, v36 src0_sel:WORD_0 src1_sel:DWORD
	v_cndmask_b32_e64 v41, v41, v43, s[0:1]
; %bb.23:                               ;   in Loop: Header=BB11_3 Depth=1
	s_or_b64 exec, exec, s[24:25]
	v_and_b32_e32 v42, 0xffff0000, v42
	v_add_f32_e32 v43, 0xc3080000, v42
	v_and_b32_e32 v42, 0x7f800000, v43
	v_cmp_ne_u32_e64 s[0:1], s6, v42
                                        ; implicit-def: $vgpr42
	s_and_saveexec_b64 s[24:25], s[0:1]
	s_xor_b64 s[0:1], exec, s[24:25]
; %bb.24:                               ;   in Loop: Header=BB11_3 Depth=1
	v_bfe_u32 v42, v43, 16, 1
	v_add3_u32 v42, v43, v42, s27
                                        ; implicit-def: $vgpr43
; %bb.25:                               ;   in Loop: Header=BB11_3 Depth=1
	s_andn2_saveexec_b64 s[24:25], s[0:1]
; %bb.26:                               ;   in Loop: Header=BB11_3 Depth=1
	v_or_b32_e32 v42, 0x10000, v43
	v_cmp_eq_u32_sdwa s[0:1], v43, v36 src0_sel:WORD_0 src1_sel:DWORD
	v_cndmask_b32_e64 v42, v42, v43, s[0:1]
; %bb.27:                               ;   in Loop: Header=BB11_3 Depth=1
	s_or_b64 exec, exec, s[24:25]
	v_lshlrev_b32_e32 v43, 16, v44
	v_add_f32_e32 v45, 0xc3080000, v43
	v_and_b32_e32 v43, 0x7f800000, v45
	v_cmp_ne_u32_e64 s[0:1], s6, v43
                                        ; implicit-def: $vgpr43
	s_and_saveexec_b64 s[24:25], s[0:1]
	s_xor_b64 s[0:1], exec, s[24:25]
; %bb.28:                               ;   in Loop: Header=BB11_3 Depth=1
	v_bfe_u32 v43, v45, 16, 1
	v_add3_u32 v43, v45, v43, s27
                                        ; implicit-def: $vgpr45
; %bb.29:                               ;   in Loop: Header=BB11_3 Depth=1
	s_andn2_saveexec_b64 s[24:25], s[0:1]
; %bb.30:                               ;   in Loop: Header=BB11_3 Depth=1
	v_or_b32_e32 v43, 0x10000, v45
	v_cmp_eq_u32_sdwa s[0:1], v45, v36 src0_sel:WORD_0 src1_sel:DWORD
	v_cndmask_b32_e64 v43, v43, v45, s[0:1]
; %bb.31:                               ;   in Loop: Header=BB11_3 Depth=1
	s_or_b64 exec, exec, s[24:25]
	v_and_b32_e32 v44, 0xffff0000, v44
	v_add_f32_e32 v45, 0xc3080000, v44
	v_and_b32_e32 v44, 0x7f800000, v45
	v_cmp_ne_u32_e64 s[0:1], s6, v44
                                        ; implicit-def: $vgpr44
	s_and_saveexec_b64 s[24:25], s[0:1]
	s_xor_b64 s[0:1], exec, s[24:25]
; %bb.32:                               ;   in Loop: Header=BB11_3 Depth=1
	v_bfe_u32 v44, v45, 16, 1
	v_add3_u32 v44, v45, v44, s27
                                        ; implicit-def: $vgpr45
; %bb.33:                               ;   in Loop: Header=BB11_3 Depth=1
	s_andn2_saveexec_b64 s[24:25], s[0:1]
; %bb.34:                               ;   in Loop: Header=BB11_3 Depth=1
	v_or_b32_e32 v44, 0x10000, v45
	v_cmp_eq_u32_sdwa s[0:1], v45, v36 src0_sel:WORD_0 src1_sel:DWORD
	v_cndmask_b32_e64 v44, v44, v45, s[0:1]
; %bb.35:                               ;   in Loop: Header=BB11_3 Depth=1
	s_or_b64 exec, exec, s[24:25]
	v_lshlrev_b32_e32 v45, 16, v40
	v_add_f32_e32 v46, 0xc3080000, v45
	v_and_b32_e32 v45, 0x7f800000, v46
	v_cmp_ne_u32_e64 s[0:1], s6, v45
                                        ; implicit-def: $vgpr45
	s_and_saveexec_b64 s[24:25], s[0:1]
	s_xor_b64 s[0:1], exec, s[24:25]
; %bb.36:                               ;   in Loop: Header=BB11_3 Depth=1
	v_bfe_u32 v45, v46, 16, 1
	v_add3_u32 v45, v46, v45, s27
                                        ; implicit-def: $vgpr46
; %bb.37:                               ;   in Loop: Header=BB11_3 Depth=1
	s_andn2_saveexec_b64 s[24:25], s[0:1]
; %bb.38:                               ;   in Loop: Header=BB11_3 Depth=1
	v_or_b32_e32 v45, 0x10000, v46
	v_cmp_eq_u32_sdwa s[0:1], v46, v36 src0_sel:WORD_0 src1_sel:DWORD
	v_cndmask_b32_e64 v45, v45, v46, s[0:1]
; %bb.39:                               ;   in Loop: Header=BB11_3 Depth=1
	s_or_b64 exec, exec, s[24:25]
	v_and_b32_e32 v40, 0xffff0000, v40
	v_add_f32_e32 v40, 0xc3080000, v40
	v_and_b32_e32 v46, 0x7f800000, v40
	v_cmp_ne_u32_e64 s[0:1], s6, v46
                                        ; implicit-def: $vgpr46
	s_and_saveexec_b64 s[24:25], s[0:1]
	s_xor_b64 s[0:1], exec, s[24:25]
; %bb.40:                               ;   in Loop: Header=BB11_3 Depth=1
	v_bfe_u32 v46, v40, 16, 1
	v_add3_u32 v46, v40, v46, s27
                                        ; implicit-def: $vgpr40
; %bb.41:                               ;   in Loop: Header=BB11_3 Depth=1
	s_andn2_saveexec_b64 s[24:25], s[0:1]
; %bb.42:                               ;   in Loop: Header=BB11_3 Depth=1
	v_or_b32_e32 v46, 0x10000, v40
	v_cmp_eq_u32_sdwa s[0:1], v40, v36 src0_sel:WORD_0 src1_sel:DWORD
	v_cndmask_b32_e64 v46, v46, v40, s[0:1]
; %bb.43:                               ;   in Loop: Header=BB11_3 Depth=1
	s_or_b64 exec, exec, s[24:25]
	v_and_b32_e32 v4, 0xffff0000, v4
	s_waitcnt vmcnt(0)
	v_lshlrev_b32_e32 v40, 16, v9
	v_and_b32_e32 v9, 0xffff0000, v9
	v_fma_f32 v47, v4, v40, v9
	v_and_b32_e32 v4, 0x7f800000, v47
	v_cmp_ne_u32_e64 s[0:1], s6, v4
                                        ; implicit-def: $vgpr4
	s_and_saveexec_b64 s[24:25], s[0:1]
	s_xor_b64 s[0:1], exec, s[24:25]
; %bb.44:                               ;   in Loop: Header=BB11_3 Depth=1
	v_bfe_u32 v4, v47, 16, 1
	v_add3_u32 v4, v47, v4, s27
                                        ; implicit-def: $vgpr47
; %bb.45:                               ;   in Loop: Header=BB11_3 Depth=1
	s_andn2_saveexec_b64 s[24:25], s[0:1]
; %bb.46:                               ;   in Loop: Header=BB11_3 Depth=1
	v_or_b32_e32 v4, 0x10000, v47
	v_cmp_eq_u32_sdwa s[0:1], v47, v36 src0_sel:WORD_0 src1_sel:DWORD
	v_cndmask_b32_e64 v4, v4, v47, s[0:1]
; %bb.47:                               ;   in Loop: Header=BB11_3 Depth=1
	s_or_b64 exec, exec, s[24:25]
	v_and_b32_e32 v39, 0xffff0000, v39
	v_fma_f32 v47, v39, v40, v9
	v_and_b32_e32 v39, 0x7f800000, v47
	v_cmp_ne_u32_e64 s[0:1], s6, v39
                                        ; implicit-def: $vgpr39
	s_and_saveexec_b64 s[24:25], s[0:1]
	s_xor_b64 s[0:1], exec, s[24:25]
; %bb.48:                               ;   in Loop: Header=BB11_3 Depth=1
	v_bfe_u32 v39, v47, 16, 1
	v_add3_u32 v39, v47, v39, s27
                                        ; implicit-def: $vgpr47
; %bb.49:                               ;   in Loop: Header=BB11_3 Depth=1
	s_andn2_saveexec_b64 s[24:25], s[0:1]
; %bb.50:                               ;   in Loop: Header=BB11_3 Depth=1
	v_or_b32_e32 v39, 0x10000, v47
	v_cmp_eq_u32_sdwa s[0:1], v47, v36 src0_sel:WORD_0 src1_sel:DWORD
	v_cndmask_b32_e64 v39, v39, v47, s[0:1]
; %bb.51:                               ;   in Loop: Header=BB11_3 Depth=1
	s_or_b64 exec, exec, s[24:25]
	v_and_b32_e32 v41, 0xffff0000, v41
	v_fma_f32 v47, v41, v40, v9
	v_and_b32_e32 v41, 0x7f800000, v47
	v_cmp_ne_u32_e64 s[0:1], s6, v41
                                        ; implicit-def: $vgpr41
	s_and_saveexec_b64 s[24:25], s[0:1]
	s_xor_b64 s[0:1], exec, s[24:25]
; %bb.52:                               ;   in Loop: Header=BB11_3 Depth=1
	v_bfe_u32 v41, v47, 16, 1
	v_add3_u32 v41, v47, v41, s27
                                        ; implicit-def: $vgpr47
; %bb.53:                               ;   in Loop: Header=BB11_3 Depth=1
	s_andn2_saveexec_b64 s[24:25], s[0:1]
; %bb.54:                               ;   in Loop: Header=BB11_3 Depth=1
	v_or_b32_e32 v41, 0x10000, v47
	v_cmp_eq_u32_sdwa s[0:1], v47, v36 src0_sel:WORD_0 src1_sel:DWORD
	v_cndmask_b32_e64 v41, v41, v47, s[0:1]
; %bb.55:                               ;   in Loop: Header=BB11_3 Depth=1
	s_or_b64 exec, exec, s[24:25]
	v_and_b32_e32 v42, 0xffff0000, v42
	v_fma_f32 v47, v42, v40, v9
	v_and_b32_e32 v42, 0x7f800000, v47
	v_cmp_ne_u32_e64 s[0:1], s6, v42
                                        ; implicit-def: $vgpr42
	s_and_saveexec_b64 s[24:25], s[0:1]
	s_xor_b64 s[0:1], exec, s[24:25]
; %bb.56:                               ;   in Loop: Header=BB11_3 Depth=1
	v_bfe_u32 v42, v47, 16, 1
	v_add3_u32 v42, v47, v42, s27
                                        ; implicit-def: $vgpr47
; %bb.57:                               ;   in Loop: Header=BB11_3 Depth=1
	s_andn2_saveexec_b64 s[24:25], s[0:1]
; %bb.58:                               ;   in Loop: Header=BB11_3 Depth=1
	v_or_b32_e32 v42, 0x10000, v47
	v_cmp_eq_u32_sdwa s[0:1], v47, v36 src0_sel:WORD_0 src1_sel:DWORD
	v_cndmask_b32_e64 v42, v42, v47, s[0:1]
; %bb.59:                               ;   in Loop: Header=BB11_3 Depth=1
	s_or_b64 exec, exec, s[24:25]
	v_and_b32_e32 v43, 0xffff0000, v43
	v_fma_f32 v47, v43, v40, v9
	v_and_b32_e32 v43, 0x7f800000, v47
	v_cmp_ne_u32_e64 s[0:1], s6, v43
                                        ; implicit-def: $vgpr43
	s_and_saveexec_b64 s[24:25], s[0:1]
	s_xor_b64 s[0:1], exec, s[24:25]
; %bb.60:                               ;   in Loop: Header=BB11_3 Depth=1
	v_bfe_u32 v43, v47, 16, 1
	v_add3_u32 v43, v47, v43, s27
                                        ; implicit-def: $vgpr47
; %bb.61:                               ;   in Loop: Header=BB11_3 Depth=1
	s_andn2_saveexec_b64 s[24:25], s[0:1]
; %bb.62:                               ;   in Loop: Header=BB11_3 Depth=1
	v_or_b32_e32 v43, 0x10000, v47
	v_cmp_eq_u32_sdwa s[0:1], v47, v36 src0_sel:WORD_0 src1_sel:DWORD
	v_cndmask_b32_e64 v43, v43, v47, s[0:1]
; %bb.63:                               ;   in Loop: Header=BB11_3 Depth=1
	s_or_b64 exec, exec, s[24:25]
	v_and_b32_e32 v44, 0xffff0000, v44
	v_fma_f32 v47, v44, v40, v9
	v_and_b32_e32 v44, 0x7f800000, v47
	v_cmp_ne_u32_e64 s[0:1], s6, v44
                                        ; implicit-def: $vgpr44
	s_and_saveexec_b64 s[24:25], s[0:1]
	s_xor_b64 s[0:1], exec, s[24:25]
; %bb.64:                               ;   in Loop: Header=BB11_3 Depth=1
	v_bfe_u32 v44, v47, 16, 1
	v_add3_u32 v44, v47, v44, s27
                                        ; implicit-def: $vgpr47
; %bb.65:                               ;   in Loop: Header=BB11_3 Depth=1
	s_andn2_saveexec_b64 s[24:25], s[0:1]
; %bb.66:                               ;   in Loop: Header=BB11_3 Depth=1
	v_or_b32_e32 v44, 0x10000, v47
	v_cmp_eq_u32_sdwa s[0:1], v47, v36 src0_sel:WORD_0 src1_sel:DWORD
	v_cndmask_b32_e64 v44, v44, v47, s[0:1]
; %bb.67:                               ;   in Loop: Header=BB11_3 Depth=1
	s_or_b64 exec, exec, s[24:25]
	v_and_b32_e32 v45, 0xffff0000, v45
	v_fma_f32 v47, v45, v40, v9
	v_and_b32_e32 v45, 0x7f800000, v47
	v_cmp_ne_u32_e64 s[0:1], s6, v45
                                        ; implicit-def: $vgpr45
	s_and_saveexec_b64 s[24:25], s[0:1]
	s_xor_b64 s[0:1], exec, s[24:25]
; %bb.68:                               ;   in Loop: Header=BB11_3 Depth=1
	v_bfe_u32 v45, v47, 16, 1
	v_add3_u32 v45, v47, v45, s27
                                        ; implicit-def: $vgpr47
; %bb.69:                               ;   in Loop: Header=BB11_3 Depth=1
	s_andn2_saveexec_b64 s[24:25], s[0:1]
; %bb.70:                               ;   in Loop: Header=BB11_3 Depth=1
	v_or_b32_e32 v45, 0x10000, v47
	v_cmp_eq_u32_sdwa s[0:1], v47, v36 src0_sel:WORD_0 src1_sel:DWORD
	v_cndmask_b32_e64 v45, v45, v47, s[0:1]
; %bb.71:                               ;   in Loop: Header=BB11_3 Depth=1
	s_or_b64 exec, exec, s[24:25]
	v_and_b32_e32 v46, 0xffff0000, v46
	v_fma_f32 v47, v46, v40, v9
	v_and_b32_e32 v46, 0x7f800000, v47
	v_cmp_ne_u32_e64 s[0:1], s6, v46
                                        ; implicit-def: $vgpr46
	s_and_saveexec_b64 s[24:25], s[0:1]
	s_xor_b64 s[0:1], exec, s[24:25]
; %bb.72:                               ;   in Loop: Header=BB11_3 Depth=1
	v_bfe_u32 v46, v47, 16, 1
	v_add3_u32 v46, v47, v46, s27
                                        ; implicit-def: $vgpr47
; %bb.73:                               ;   in Loop: Header=BB11_3 Depth=1
	s_andn2_saveexec_b64 s[24:25], s[0:1]
; %bb.74:                               ;   in Loop: Header=BB11_3 Depth=1
	v_or_b32_e32 v46, 0x10000, v47
	v_cmp_eq_u32_sdwa s[0:1], v47, v36 src0_sel:WORD_0 src1_sel:DWORD
	v_cndmask_b32_e64 v46, v46, v47, s[0:1]
; %bb.75:                               ;   in Loop: Header=BB11_3 Depth=1
	s_or_b64 exec, exec, s[24:25]
	v_lshrrev_b32_e32 v48, 4, v5
	;;#ASMSTART
	v_and_or_b32 v47, v5, v37, v38
	;;#ASMEND
	;;#ASMSTART
	v_and_or_b32 v49, v48, v37, v38
	;;#ASMEND
	v_lshrrev_b32_e32 v48, 8, v5
	v_lshrrev_b32_e32 v5, 12, v5
	;;#ASMSTART
	v_and_or_b32 v51, v48, v37, v38
	;;#ASMEND
	;;#ASMSTART
	v_and_or_b32 v53, v5, v37, v38
	;;#ASMEND
	v_lshlrev_b32_e32 v5, 16, v47
	v_add_f32_e32 v48, 0xc3080000, v5
	v_and_b32_e32 v5, 0x7f800000, v48
	v_cmp_ne_u32_e64 s[0:1], s6, v5
                                        ; implicit-def: $vgpr5
	s_and_saveexec_b64 s[24:25], s[0:1]
	s_xor_b64 s[0:1], exec, s[24:25]
; %bb.76:                               ;   in Loop: Header=BB11_3 Depth=1
	v_bfe_u32 v5, v48, 16, 1
	v_add3_u32 v5, v48, v5, s27
                                        ; implicit-def: $vgpr48
; %bb.77:                               ;   in Loop: Header=BB11_3 Depth=1
	s_andn2_saveexec_b64 s[24:25], s[0:1]
; %bb.78:                               ;   in Loop: Header=BB11_3 Depth=1
	v_or_b32_e32 v5, 0x10000, v48
	v_cmp_eq_u32_sdwa s[0:1], v48, v36 src0_sel:WORD_0 src1_sel:DWORD
	v_cndmask_b32_e64 v5, v5, v48, s[0:1]
; %bb.79:                               ;   in Loop: Header=BB11_3 Depth=1
	s_or_b64 exec, exec, s[24:25]
	v_and_b32_e32 v47, 0xffff0000, v47
	v_add_f32_e32 v48, 0xc3080000, v47
	v_and_b32_e32 v47, 0x7f800000, v48
	v_cmp_ne_u32_e64 s[0:1], s6, v47
                                        ; implicit-def: $vgpr47
	s_and_saveexec_b64 s[24:25], s[0:1]
	s_xor_b64 s[0:1], exec, s[24:25]
; %bb.80:                               ;   in Loop: Header=BB11_3 Depth=1
	v_bfe_u32 v47, v48, 16, 1
	v_add3_u32 v47, v48, v47, s27
                                        ; implicit-def: $vgpr48
; %bb.81:                               ;   in Loop: Header=BB11_3 Depth=1
	s_andn2_saveexec_b64 s[24:25], s[0:1]
; %bb.82:                               ;   in Loop: Header=BB11_3 Depth=1
	v_or_b32_e32 v47, 0x10000, v48
	v_cmp_eq_u32_sdwa s[0:1], v48, v36 src0_sel:WORD_0 src1_sel:DWORD
	v_cndmask_b32_e64 v47, v47, v48, s[0:1]
; %bb.83:                               ;   in Loop: Header=BB11_3 Depth=1
	s_or_b64 exec, exec, s[24:25]
	v_lshlrev_b32_e32 v48, 16, v49
	v_add_f32_e32 v50, 0xc3080000, v48
	v_and_b32_e32 v48, 0x7f800000, v50
	v_cmp_ne_u32_e64 s[0:1], s6, v48
                                        ; implicit-def: $vgpr48
	s_and_saveexec_b64 s[24:25], s[0:1]
	s_xor_b64 s[0:1], exec, s[24:25]
; %bb.84:                               ;   in Loop: Header=BB11_3 Depth=1
	v_bfe_u32 v48, v50, 16, 1
	v_add3_u32 v48, v50, v48, s27
                                        ; implicit-def: $vgpr50
; %bb.85:                               ;   in Loop: Header=BB11_3 Depth=1
	s_andn2_saveexec_b64 s[24:25], s[0:1]
; %bb.86:                               ;   in Loop: Header=BB11_3 Depth=1
	v_or_b32_e32 v48, 0x10000, v50
	v_cmp_eq_u32_sdwa s[0:1], v50, v36 src0_sel:WORD_0 src1_sel:DWORD
	v_cndmask_b32_e64 v48, v48, v50, s[0:1]
; %bb.87:                               ;   in Loop: Header=BB11_3 Depth=1
	s_or_b64 exec, exec, s[24:25]
	v_and_b32_e32 v49, 0xffff0000, v49
	v_add_f32_e32 v50, 0xc3080000, v49
	v_and_b32_e32 v49, 0x7f800000, v50
	v_cmp_ne_u32_e64 s[0:1], s6, v49
                                        ; implicit-def: $vgpr49
	s_and_saveexec_b64 s[24:25], s[0:1]
	s_xor_b64 s[0:1], exec, s[24:25]
; %bb.88:                               ;   in Loop: Header=BB11_3 Depth=1
	v_bfe_u32 v49, v50, 16, 1
	v_add3_u32 v49, v50, v49, s27
                                        ; implicit-def: $vgpr50
; %bb.89:                               ;   in Loop: Header=BB11_3 Depth=1
	s_andn2_saveexec_b64 s[24:25], s[0:1]
; %bb.90:                               ;   in Loop: Header=BB11_3 Depth=1
	v_or_b32_e32 v49, 0x10000, v50
	v_cmp_eq_u32_sdwa s[0:1], v50, v36 src0_sel:WORD_0 src1_sel:DWORD
	v_cndmask_b32_e64 v49, v49, v50, s[0:1]
; %bb.91:                               ;   in Loop: Header=BB11_3 Depth=1
	s_or_b64 exec, exec, s[24:25]
	v_lshlrev_b32_e32 v50, 16, v51
	v_add_f32_e32 v52, 0xc3080000, v50
	v_and_b32_e32 v50, 0x7f800000, v52
	v_cmp_ne_u32_e64 s[0:1], s6, v50
                                        ; implicit-def: $vgpr50
	s_and_saveexec_b64 s[24:25], s[0:1]
	s_xor_b64 s[0:1], exec, s[24:25]
; %bb.92:                               ;   in Loop: Header=BB11_3 Depth=1
	v_bfe_u32 v50, v52, 16, 1
	v_add3_u32 v50, v52, v50, s27
                                        ; implicit-def: $vgpr52
; %bb.93:                               ;   in Loop: Header=BB11_3 Depth=1
	s_andn2_saveexec_b64 s[24:25], s[0:1]
; %bb.94:                               ;   in Loop: Header=BB11_3 Depth=1
	v_or_b32_e32 v50, 0x10000, v52
	v_cmp_eq_u32_sdwa s[0:1], v52, v36 src0_sel:WORD_0 src1_sel:DWORD
	v_cndmask_b32_e64 v50, v50, v52, s[0:1]
; %bb.95:                               ;   in Loop: Header=BB11_3 Depth=1
	s_or_b64 exec, exec, s[24:25]
	v_and_b32_e32 v51, 0xffff0000, v51
	v_add_f32_e32 v52, 0xc3080000, v51
	v_and_b32_e32 v51, 0x7f800000, v52
	v_cmp_ne_u32_e64 s[0:1], s6, v51
                                        ; implicit-def: $vgpr51
	s_and_saveexec_b64 s[24:25], s[0:1]
	s_xor_b64 s[0:1], exec, s[24:25]
; %bb.96:                               ;   in Loop: Header=BB11_3 Depth=1
	v_bfe_u32 v51, v52, 16, 1
	v_add3_u32 v51, v52, v51, s27
                                        ; implicit-def: $vgpr52
; %bb.97:                               ;   in Loop: Header=BB11_3 Depth=1
	s_andn2_saveexec_b64 s[24:25], s[0:1]
; %bb.98:                               ;   in Loop: Header=BB11_3 Depth=1
	v_or_b32_e32 v51, 0x10000, v52
	v_cmp_eq_u32_sdwa s[0:1], v52, v36 src0_sel:WORD_0 src1_sel:DWORD
	v_cndmask_b32_e64 v51, v51, v52, s[0:1]
; %bb.99:                               ;   in Loop: Header=BB11_3 Depth=1
	s_or_b64 exec, exec, s[24:25]
	v_lshlrev_b32_e32 v52, 16, v53
	v_add_f32_e32 v54, 0xc3080000, v52
	v_and_b32_e32 v52, 0x7f800000, v54
	v_cmp_ne_u32_e64 s[0:1], s6, v52
                                        ; implicit-def: $vgpr52
	s_and_saveexec_b64 s[24:25], s[0:1]
	s_xor_b64 s[0:1], exec, s[24:25]
; %bb.100:                              ;   in Loop: Header=BB11_3 Depth=1
	v_bfe_u32 v52, v54, 16, 1
	v_add3_u32 v52, v54, v52, s27
                                        ; implicit-def: $vgpr54
; %bb.101:                              ;   in Loop: Header=BB11_3 Depth=1
	s_andn2_saveexec_b64 s[24:25], s[0:1]
; %bb.102:                              ;   in Loop: Header=BB11_3 Depth=1
	v_or_b32_e32 v52, 0x10000, v54
	v_cmp_eq_u32_sdwa s[0:1], v54, v36 src0_sel:WORD_0 src1_sel:DWORD
	v_cndmask_b32_e64 v52, v52, v54, s[0:1]
; %bb.103:                              ;   in Loop: Header=BB11_3 Depth=1
	s_or_b64 exec, exec, s[24:25]
	v_and_b32_e32 v53, 0xffff0000, v53
	v_add_f32_e32 v54, 0xc3080000, v53
	v_and_b32_e32 v53, 0x7f800000, v54
	v_cmp_ne_u32_e64 s[0:1], s6, v53
                                        ; implicit-def: $vgpr53
	s_and_saveexec_b64 s[24:25], s[0:1]
	s_xor_b64 s[0:1], exec, s[24:25]
; %bb.104:                              ;   in Loop: Header=BB11_3 Depth=1
	v_bfe_u32 v53, v54, 16, 1
	v_add3_u32 v53, v54, v53, s27
                                        ; implicit-def: $vgpr54
; %bb.105:                              ;   in Loop: Header=BB11_3 Depth=1
	s_andn2_saveexec_b64 s[24:25], s[0:1]
; %bb.106:                              ;   in Loop: Header=BB11_3 Depth=1
	v_or_b32_e32 v53, 0x10000, v54
	v_cmp_eq_u32_sdwa s[0:1], v54, v36 src0_sel:WORD_0 src1_sel:DWORD
	v_cndmask_b32_e64 v53, v53, v54, s[0:1]
; %bb.107:                              ;   in Loop: Header=BB11_3 Depth=1
	s_or_b64 exec, exec, s[24:25]
	v_and_b32_e32 v5, 0xffff0000, v5
	v_fma_f32 v54, v5, v40, v9
	v_and_b32_e32 v5, 0x7f800000, v54
	v_cmp_ne_u32_e64 s[0:1], s6, v5
                                        ; implicit-def: $vgpr5
	s_and_saveexec_b64 s[24:25], s[0:1]
	s_xor_b64 s[0:1], exec, s[24:25]
; %bb.108:                              ;   in Loop: Header=BB11_3 Depth=1
	v_bfe_u32 v5, v54, 16, 1
	v_add3_u32 v5, v54, v5, s27
                                        ; implicit-def: $vgpr54
; %bb.109:                              ;   in Loop: Header=BB11_3 Depth=1
	s_andn2_saveexec_b64 s[24:25], s[0:1]
; %bb.110:                              ;   in Loop: Header=BB11_3 Depth=1
	v_or_b32_e32 v5, 0x10000, v54
	v_cmp_eq_u32_sdwa s[0:1], v54, v36 src0_sel:WORD_0 src1_sel:DWORD
	v_cndmask_b32_e64 v5, v5, v54, s[0:1]
; %bb.111:                              ;   in Loop: Header=BB11_3 Depth=1
	s_or_b64 exec, exec, s[24:25]
	v_and_b32_e32 v47, 0xffff0000, v47
	v_fma_f32 v54, v47, v40, v9
	v_and_b32_e32 v47, 0x7f800000, v54
	v_cmp_ne_u32_e64 s[0:1], s6, v47
                                        ; implicit-def: $vgpr47
	s_and_saveexec_b64 s[24:25], s[0:1]
	s_xor_b64 s[0:1], exec, s[24:25]
; %bb.112:                              ;   in Loop: Header=BB11_3 Depth=1
	v_bfe_u32 v47, v54, 16, 1
	v_add3_u32 v47, v54, v47, s27
                                        ; implicit-def: $vgpr54
; %bb.113:                              ;   in Loop: Header=BB11_3 Depth=1
	s_andn2_saveexec_b64 s[24:25], s[0:1]
; %bb.114:                              ;   in Loop: Header=BB11_3 Depth=1
	v_or_b32_e32 v47, 0x10000, v54
	v_cmp_eq_u32_sdwa s[0:1], v54, v36 src0_sel:WORD_0 src1_sel:DWORD
	v_cndmask_b32_e64 v47, v47, v54, s[0:1]
; %bb.115:                              ;   in Loop: Header=BB11_3 Depth=1
	s_or_b64 exec, exec, s[24:25]
	v_and_b32_e32 v48, 0xffff0000, v48
	v_fma_f32 v54, v48, v40, v9
	v_and_b32_e32 v48, 0x7f800000, v54
	v_cmp_ne_u32_e64 s[0:1], s6, v48
                                        ; implicit-def: $vgpr48
	s_and_saveexec_b64 s[24:25], s[0:1]
	s_xor_b64 s[0:1], exec, s[24:25]
; %bb.116:                              ;   in Loop: Header=BB11_3 Depth=1
	v_bfe_u32 v48, v54, 16, 1
	v_add3_u32 v48, v54, v48, s27
                                        ; implicit-def: $vgpr54
; %bb.117:                              ;   in Loop: Header=BB11_3 Depth=1
	s_andn2_saveexec_b64 s[24:25], s[0:1]
; %bb.118:                              ;   in Loop: Header=BB11_3 Depth=1
	v_or_b32_e32 v48, 0x10000, v54
	v_cmp_eq_u32_sdwa s[0:1], v54, v36 src0_sel:WORD_0 src1_sel:DWORD
	v_cndmask_b32_e64 v48, v48, v54, s[0:1]
; %bb.119:                              ;   in Loop: Header=BB11_3 Depth=1
	s_or_b64 exec, exec, s[24:25]
	v_and_b32_e32 v49, 0xffff0000, v49
	v_fma_f32 v54, v49, v40, v9
	v_and_b32_e32 v49, 0x7f800000, v54
	v_cmp_ne_u32_e64 s[0:1], s6, v49
                                        ; implicit-def: $vgpr49
	s_and_saveexec_b64 s[24:25], s[0:1]
	s_xor_b64 s[0:1], exec, s[24:25]
; %bb.120:                              ;   in Loop: Header=BB11_3 Depth=1
	v_bfe_u32 v49, v54, 16, 1
	v_add3_u32 v49, v54, v49, s27
                                        ; implicit-def: $vgpr54
; %bb.121:                              ;   in Loop: Header=BB11_3 Depth=1
	s_andn2_saveexec_b64 s[24:25], s[0:1]
; %bb.122:                              ;   in Loop: Header=BB11_3 Depth=1
	v_or_b32_e32 v49, 0x10000, v54
	v_cmp_eq_u32_sdwa s[0:1], v54, v36 src0_sel:WORD_0 src1_sel:DWORD
	v_cndmask_b32_e64 v49, v49, v54, s[0:1]
; %bb.123:                              ;   in Loop: Header=BB11_3 Depth=1
	s_or_b64 exec, exec, s[24:25]
	v_and_b32_e32 v50, 0xffff0000, v50
	v_fma_f32 v54, v50, v40, v9
	v_and_b32_e32 v50, 0x7f800000, v54
	v_cmp_ne_u32_e64 s[0:1], s6, v50
                                        ; implicit-def: $vgpr50
	s_and_saveexec_b64 s[24:25], s[0:1]
	s_xor_b64 s[0:1], exec, s[24:25]
; %bb.124:                              ;   in Loop: Header=BB11_3 Depth=1
	v_bfe_u32 v50, v54, 16, 1
	v_add3_u32 v50, v54, v50, s27
                                        ; implicit-def: $vgpr54
; %bb.125:                              ;   in Loop: Header=BB11_3 Depth=1
	s_andn2_saveexec_b64 s[24:25], s[0:1]
; %bb.126:                              ;   in Loop: Header=BB11_3 Depth=1
	v_or_b32_e32 v50, 0x10000, v54
	v_cmp_eq_u32_sdwa s[0:1], v54, v36 src0_sel:WORD_0 src1_sel:DWORD
	v_cndmask_b32_e64 v50, v50, v54, s[0:1]
; %bb.127:                              ;   in Loop: Header=BB11_3 Depth=1
	s_or_b64 exec, exec, s[24:25]
	v_and_b32_e32 v51, 0xffff0000, v51
	v_fma_f32 v54, v51, v40, v9
	v_and_b32_e32 v51, 0x7f800000, v54
	v_cmp_ne_u32_e64 s[0:1], s6, v51
                                        ; implicit-def: $vgpr51
	s_and_saveexec_b64 s[24:25], s[0:1]
	s_xor_b64 s[0:1], exec, s[24:25]
; %bb.128:                              ;   in Loop: Header=BB11_3 Depth=1
	v_bfe_u32 v51, v54, 16, 1
	v_add3_u32 v51, v54, v51, s27
                                        ; implicit-def: $vgpr54
; %bb.129:                              ;   in Loop: Header=BB11_3 Depth=1
	s_andn2_saveexec_b64 s[24:25], s[0:1]
; %bb.130:                              ;   in Loop: Header=BB11_3 Depth=1
	v_or_b32_e32 v51, 0x10000, v54
	v_cmp_eq_u32_sdwa s[0:1], v54, v36 src0_sel:WORD_0 src1_sel:DWORD
	v_cndmask_b32_e64 v51, v51, v54, s[0:1]
; %bb.131:                              ;   in Loop: Header=BB11_3 Depth=1
	s_or_b64 exec, exec, s[24:25]
	v_and_b32_e32 v52, 0xffff0000, v52
	v_fma_f32 v54, v52, v40, v9
	v_and_b32_e32 v52, 0x7f800000, v54
	v_cmp_ne_u32_e64 s[0:1], s6, v52
                                        ; implicit-def: $vgpr52
	s_and_saveexec_b64 s[24:25], s[0:1]
	s_xor_b64 s[0:1], exec, s[24:25]
; %bb.132:                              ;   in Loop: Header=BB11_3 Depth=1
	v_bfe_u32 v52, v54, 16, 1
	v_add3_u32 v52, v54, v52, s27
                                        ; implicit-def: $vgpr54
; %bb.133:                              ;   in Loop: Header=BB11_3 Depth=1
	s_andn2_saveexec_b64 s[24:25], s[0:1]
; %bb.134:                              ;   in Loop: Header=BB11_3 Depth=1
	v_or_b32_e32 v52, 0x10000, v54
	v_cmp_eq_u32_sdwa s[0:1], v54, v36 src0_sel:WORD_0 src1_sel:DWORD
	v_cndmask_b32_e64 v52, v52, v54, s[0:1]
; %bb.135:                              ;   in Loop: Header=BB11_3 Depth=1
	s_or_b64 exec, exec, s[24:25]
	v_and_b32_e32 v53, 0xffff0000, v53
	v_fma_f32 v54, v53, v40, v9
	v_and_b32_e32 v53, 0x7f800000, v54
	v_cmp_ne_u32_e64 s[0:1], s6, v53
                                        ; implicit-def: $vgpr53
	s_and_saveexec_b64 s[24:25], s[0:1]
	s_xor_b64 s[0:1], exec, s[24:25]
; %bb.136:                              ;   in Loop: Header=BB11_3 Depth=1
	v_bfe_u32 v53, v54, 16, 1
	v_add3_u32 v53, v54, v53, s27
                                        ; implicit-def: $vgpr54
; %bb.137:                              ;   in Loop: Header=BB11_3 Depth=1
	s_andn2_saveexec_b64 s[24:25], s[0:1]
; %bb.138:                              ;   in Loop: Header=BB11_3 Depth=1
	v_or_b32_e32 v53, 0x10000, v54
	v_cmp_eq_u32_sdwa s[0:1], v54, v36 src0_sel:WORD_0 src1_sel:DWORD
	v_cndmask_b32_e64 v53, v53, v54, s[0:1]
; %bb.139:                              ;   in Loop: Header=BB11_3 Depth=1
	s_or_b64 exec, exec, s[24:25]
	v_lshrrev_b32_e32 v55, 4, v6
	;;#ASMSTART
	v_and_or_b32 v54, v6, v37, v38
	;;#ASMEND
	;;#ASMSTART
	v_and_or_b32 v56, v55, v37, v38
	;;#ASMEND
	v_lshrrev_b32_e32 v55, 8, v6
	v_lshrrev_b32_e32 v6, 12, v6
	;;#ASMSTART
	v_and_or_b32 v58, v55, v37, v38
	;;#ASMEND
	;;#ASMSTART
	v_and_or_b32 v60, v6, v37, v38
	;;#ASMEND
	v_lshlrev_b32_e32 v6, 16, v54
	v_add_f32_e32 v55, 0xc3080000, v6
	v_and_b32_e32 v6, 0x7f800000, v55
	v_cmp_ne_u32_e64 s[0:1], s6, v6
                                        ; implicit-def: $vgpr6
	s_and_saveexec_b64 s[24:25], s[0:1]
	s_xor_b64 s[0:1], exec, s[24:25]
; %bb.140:                              ;   in Loop: Header=BB11_3 Depth=1
	v_bfe_u32 v6, v55, 16, 1
	v_add3_u32 v6, v55, v6, s27
                                        ; implicit-def: $vgpr55
; %bb.141:                              ;   in Loop: Header=BB11_3 Depth=1
	s_andn2_saveexec_b64 s[24:25], s[0:1]
; %bb.142:                              ;   in Loop: Header=BB11_3 Depth=1
	v_or_b32_e32 v6, 0x10000, v55
	v_cmp_eq_u32_sdwa s[0:1], v55, v36 src0_sel:WORD_0 src1_sel:DWORD
	v_cndmask_b32_e64 v6, v6, v55, s[0:1]
; %bb.143:                              ;   in Loop: Header=BB11_3 Depth=1
	s_or_b64 exec, exec, s[24:25]
	v_and_b32_e32 v54, 0xffff0000, v54
	v_add_f32_e32 v55, 0xc3080000, v54
	v_and_b32_e32 v54, 0x7f800000, v55
	v_cmp_ne_u32_e64 s[0:1], s6, v54
                                        ; implicit-def: $vgpr54
	s_and_saveexec_b64 s[24:25], s[0:1]
	s_xor_b64 s[0:1], exec, s[24:25]
; %bb.144:                              ;   in Loop: Header=BB11_3 Depth=1
	v_bfe_u32 v54, v55, 16, 1
	v_add3_u32 v54, v55, v54, s27
                                        ; implicit-def: $vgpr55
; %bb.145:                              ;   in Loop: Header=BB11_3 Depth=1
	s_andn2_saveexec_b64 s[24:25], s[0:1]
; %bb.146:                              ;   in Loop: Header=BB11_3 Depth=1
	v_or_b32_e32 v54, 0x10000, v55
	v_cmp_eq_u32_sdwa s[0:1], v55, v36 src0_sel:WORD_0 src1_sel:DWORD
	v_cndmask_b32_e64 v54, v54, v55, s[0:1]
; %bb.147:                              ;   in Loop: Header=BB11_3 Depth=1
	s_or_b64 exec, exec, s[24:25]
	v_lshlrev_b32_e32 v55, 16, v56
	v_add_f32_e32 v57, 0xc3080000, v55
	v_and_b32_e32 v55, 0x7f800000, v57
	v_cmp_ne_u32_e64 s[0:1], s6, v55
                                        ; implicit-def: $vgpr55
	s_and_saveexec_b64 s[24:25], s[0:1]
	s_xor_b64 s[0:1], exec, s[24:25]
; %bb.148:                              ;   in Loop: Header=BB11_3 Depth=1
	v_bfe_u32 v55, v57, 16, 1
	v_add3_u32 v55, v57, v55, s27
                                        ; implicit-def: $vgpr57
; %bb.149:                              ;   in Loop: Header=BB11_3 Depth=1
	s_andn2_saveexec_b64 s[24:25], s[0:1]
; %bb.150:                              ;   in Loop: Header=BB11_3 Depth=1
	v_or_b32_e32 v55, 0x10000, v57
	v_cmp_eq_u32_sdwa s[0:1], v57, v36 src0_sel:WORD_0 src1_sel:DWORD
	v_cndmask_b32_e64 v55, v55, v57, s[0:1]
; %bb.151:                              ;   in Loop: Header=BB11_3 Depth=1
	s_or_b64 exec, exec, s[24:25]
	v_and_b32_e32 v56, 0xffff0000, v56
	v_add_f32_e32 v57, 0xc3080000, v56
	v_and_b32_e32 v56, 0x7f800000, v57
	v_cmp_ne_u32_e64 s[0:1], s6, v56
                                        ; implicit-def: $vgpr56
	s_and_saveexec_b64 s[24:25], s[0:1]
	s_xor_b64 s[0:1], exec, s[24:25]
; %bb.152:                              ;   in Loop: Header=BB11_3 Depth=1
	v_bfe_u32 v56, v57, 16, 1
	v_add3_u32 v56, v57, v56, s27
                                        ; implicit-def: $vgpr57
; %bb.153:                              ;   in Loop: Header=BB11_3 Depth=1
	s_andn2_saveexec_b64 s[24:25], s[0:1]
; %bb.154:                              ;   in Loop: Header=BB11_3 Depth=1
	v_or_b32_e32 v56, 0x10000, v57
	v_cmp_eq_u32_sdwa s[0:1], v57, v36 src0_sel:WORD_0 src1_sel:DWORD
	v_cndmask_b32_e64 v56, v56, v57, s[0:1]
; %bb.155:                              ;   in Loop: Header=BB11_3 Depth=1
	s_or_b64 exec, exec, s[24:25]
	v_lshlrev_b32_e32 v57, 16, v58
	v_add_f32_e32 v59, 0xc3080000, v57
	v_and_b32_e32 v57, 0x7f800000, v59
	v_cmp_ne_u32_e64 s[0:1], s6, v57
                                        ; implicit-def: $vgpr57
	s_and_saveexec_b64 s[24:25], s[0:1]
	s_xor_b64 s[0:1], exec, s[24:25]
; %bb.156:                              ;   in Loop: Header=BB11_3 Depth=1
	v_bfe_u32 v57, v59, 16, 1
	v_add3_u32 v57, v59, v57, s27
                                        ; implicit-def: $vgpr59
; %bb.157:                              ;   in Loop: Header=BB11_3 Depth=1
	s_andn2_saveexec_b64 s[24:25], s[0:1]
; %bb.158:                              ;   in Loop: Header=BB11_3 Depth=1
	v_or_b32_e32 v57, 0x10000, v59
	v_cmp_eq_u32_sdwa s[0:1], v59, v36 src0_sel:WORD_0 src1_sel:DWORD
	v_cndmask_b32_e64 v57, v57, v59, s[0:1]
; %bb.159:                              ;   in Loop: Header=BB11_3 Depth=1
	s_or_b64 exec, exec, s[24:25]
	v_and_b32_e32 v58, 0xffff0000, v58
	v_add_f32_e32 v59, 0xc3080000, v58
	v_and_b32_e32 v58, 0x7f800000, v59
	v_cmp_ne_u32_e64 s[0:1], s6, v58
                                        ; implicit-def: $vgpr58
	s_and_saveexec_b64 s[24:25], s[0:1]
	s_xor_b64 s[0:1], exec, s[24:25]
; %bb.160:                              ;   in Loop: Header=BB11_3 Depth=1
	v_bfe_u32 v58, v59, 16, 1
	v_add3_u32 v58, v59, v58, s27
                                        ; implicit-def: $vgpr59
; %bb.161:                              ;   in Loop: Header=BB11_3 Depth=1
	s_andn2_saveexec_b64 s[24:25], s[0:1]
; %bb.162:                              ;   in Loop: Header=BB11_3 Depth=1
	v_or_b32_e32 v58, 0x10000, v59
	v_cmp_eq_u32_sdwa s[0:1], v59, v36 src0_sel:WORD_0 src1_sel:DWORD
	v_cndmask_b32_e64 v58, v58, v59, s[0:1]
; %bb.163:                              ;   in Loop: Header=BB11_3 Depth=1
	s_or_b64 exec, exec, s[24:25]
	v_lshlrev_b32_e32 v59, 16, v60
	v_add_f32_e32 v61, 0xc3080000, v59
	v_and_b32_e32 v59, 0x7f800000, v61
	v_cmp_ne_u32_e64 s[0:1], s6, v59
                                        ; implicit-def: $vgpr59
	s_and_saveexec_b64 s[24:25], s[0:1]
	s_xor_b64 s[0:1], exec, s[24:25]
; %bb.164:                              ;   in Loop: Header=BB11_3 Depth=1
	v_bfe_u32 v59, v61, 16, 1
	v_add3_u32 v59, v61, v59, s27
                                        ; implicit-def: $vgpr61
; %bb.165:                              ;   in Loop: Header=BB11_3 Depth=1
	s_andn2_saveexec_b64 s[24:25], s[0:1]
; %bb.166:                              ;   in Loop: Header=BB11_3 Depth=1
	v_or_b32_e32 v59, 0x10000, v61
	v_cmp_eq_u32_sdwa s[0:1], v61, v36 src0_sel:WORD_0 src1_sel:DWORD
	v_cndmask_b32_e64 v59, v59, v61, s[0:1]
; %bb.167:                              ;   in Loop: Header=BB11_3 Depth=1
	s_or_b64 exec, exec, s[24:25]
	v_and_b32_e32 v60, 0xffff0000, v60
	v_add_f32_e32 v61, 0xc3080000, v60
	v_and_b32_e32 v60, 0x7f800000, v61
	v_cmp_ne_u32_e64 s[0:1], s6, v60
                                        ; implicit-def: $vgpr60
	s_and_saveexec_b64 s[24:25], s[0:1]
	s_xor_b64 s[0:1], exec, s[24:25]
; %bb.168:                              ;   in Loop: Header=BB11_3 Depth=1
	v_bfe_u32 v60, v61, 16, 1
	v_add3_u32 v60, v61, v60, s27
                                        ; implicit-def: $vgpr61
; %bb.169:                              ;   in Loop: Header=BB11_3 Depth=1
	s_andn2_saveexec_b64 s[24:25], s[0:1]
; %bb.170:                              ;   in Loop: Header=BB11_3 Depth=1
	v_or_b32_e32 v60, 0x10000, v61
	v_cmp_eq_u32_sdwa s[0:1], v61, v36 src0_sel:WORD_0 src1_sel:DWORD
	v_cndmask_b32_e64 v60, v60, v61, s[0:1]
; %bb.171:                              ;   in Loop: Header=BB11_3 Depth=1
	s_or_b64 exec, exec, s[24:25]
	v_and_b32_e32 v6, 0xffff0000, v6
	v_fma_f32 v61, v6, v40, v9
	v_and_b32_e32 v6, 0x7f800000, v61
	v_cmp_ne_u32_e64 s[0:1], s6, v6
                                        ; implicit-def: $vgpr6
	s_and_saveexec_b64 s[24:25], s[0:1]
	s_xor_b64 s[0:1], exec, s[24:25]
; %bb.172:                              ;   in Loop: Header=BB11_3 Depth=1
	v_bfe_u32 v6, v61, 16, 1
	v_add3_u32 v6, v61, v6, s27
                                        ; implicit-def: $vgpr61
; %bb.173:                              ;   in Loop: Header=BB11_3 Depth=1
	s_andn2_saveexec_b64 s[24:25], s[0:1]
; %bb.174:                              ;   in Loop: Header=BB11_3 Depth=1
	v_or_b32_e32 v6, 0x10000, v61
	v_cmp_eq_u32_sdwa s[0:1], v61, v36 src0_sel:WORD_0 src1_sel:DWORD
	v_cndmask_b32_e64 v6, v6, v61, s[0:1]
; %bb.175:                              ;   in Loop: Header=BB11_3 Depth=1
	s_or_b64 exec, exec, s[24:25]
	v_and_b32_e32 v54, 0xffff0000, v54
	v_fma_f32 v61, v54, v40, v9
	v_and_b32_e32 v54, 0x7f800000, v61
	v_cmp_ne_u32_e64 s[0:1], s6, v54
                                        ; implicit-def: $vgpr54
	s_and_saveexec_b64 s[24:25], s[0:1]
	s_xor_b64 s[0:1], exec, s[24:25]
; %bb.176:                              ;   in Loop: Header=BB11_3 Depth=1
	v_bfe_u32 v54, v61, 16, 1
	v_add3_u32 v54, v61, v54, s27
                                        ; implicit-def: $vgpr61
; %bb.177:                              ;   in Loop: Header=BB11_3 Depth=1
	s_andn2_saveexec_b64 s[24:25], s[0:1]
; %bb.178:                              ;   in Loop: Header=BB11_3 Depth=1
	v_or_b32_e32 v54, 0x10000, v61
	v_cmp_eq_u32_sdwa s[0:1], v61, v36 src0_sel:WORD_0 src1_sel:DWORD
	v_cndmask_b32_e64 v54, v54, v61, s[0:1]
; %bb.179:                              ;   in Loop: Header=BB11_3 Depth=1
	s_or_b64 exec, exec, s[24:25]
	v_and_b32_e32 v55, 0xffff0000, v55
	v_fma_f32 v61, v55, v40, v9
	v_and_b32_e32 v55, 0x7f800000, v61
	v_cmp_ne_u32_e64 s[0:1], s6, v55
                                        ; implicit-def: $vgpr55
	s_and_saveexec_b64 s[24:25], s[0:1]
	s_xor_b64 s[0:1], exec, s[24:25]
; %bb.180:                              ;   in Loop: Header=BB11_3 Depth=1
	v_bfe_u32 v55, v61, 16, 1
	v_add3_u32 v55, v61, v55, s27
                                        ; implicit-def: $vgpr61
; %bb.181:                              ;   in Loop: Header=BB11_3 Depth=1
	s_andn2_saveexec_b64 s[24:25], s[0:1]
; %bb.182:                              ;   in Loop: Header=BB11_3 Depth=1
	v_or_b32_e32 v55, 0x10000, v61
	v_cmp_eq_u32_sdwa s[0:1], v61, v36 src0_sel:WORD_0 src1_sel:DWORD
	v_cndmask_b32_e64 v55, v55, v61, s[0:1]
; %bb.183:                              ;   in Loop: Header=BB11_3 Depth=1
	s_or_b64 exec, exec, s[24:25]
	v_and_b32_e32 v56, 0xffff0000, v56
	v_fma_f32 v61, v56, v40, v9
	v_and_b32_e32 v56, 0x7f800000, v61
	v_cmp_ne_u32_e64 s[0:1], s6, v56
                                        ; implicit-def: $vgpr56
	s_and_saveexec_b64 s[24:25], s[0:1]
	s_xor_b64 s[0:1], exec, s[24:25]
; %bb.184:                              ;   in Loop: Header=BB11_3 Depth=1
	v_bfe_u32 v56, v61, 16, 1
	v_add3_u32 v56, v61, v56, s27
                                        ; implicit-def: $vgpr61
; %bb.185:                              ;   in Loop: Header=BB11_3 Depth=1
	s_andn2_saveexec_b64 s[24:25], s[0:1]
; %bb.186:                              ;   in Loop: Header=BB11_3 Depth=1
	v_or_b32_e32 v56, 0x10000, v61
	v_cmp_eq_u32_sdwa s[0:1], v61, v36 src0_sel:WORD_0 src1_sel:DWORD
	v_cndmask_b32_e64 v56, v56, v61, s[0:1]
; %bb.187:                              ;   in Loop: Header=BB11_3 Depth=1
	s_or_b64 exec, exec, s[24:25]
	v_and_b32_e32 v57, 0xffff0000, v57
	v_fma_f32 v61, v57, v40, v9
	v_and_b32_e32 v57, 0x7f800000, v61
	v_cmp_ne_u32_e64 s[0:1], s6, v57
                                        ; implicit-def: $vgpr57
	s_and_saveexec_b64 s[24:25], s[0:1]
	s_xor_b64 s[0:1], exec, s[24:25]
; %bb.188:                              ;   in Loop: Header=BB11_3 Depth=1
	v_bfe_u32 v57, v61, 16, 1
	v_add3_u32 v57, v61, v57, s27
                                        ; implicit-def: $vgpr61
; %bb.189:                              ;   in Loop: Header=BB11_3 Depth=1
	s_andn2_saveexec_b64 s[24:25], s[0:1]
; %bb.190:                              ;   in Loop: Header=BB11_3 Depth=1
	v_or_b32_e32 v57, 0x10000, v61
	v_cmp_eq_u32_sdwa s[0:1], v61, v36 src0_sel:WORD_0 src1_sel:DWORD
	v_cndmask_b32_e64 v57, v57, v61, s[0:1]
; %bb.191:                              ;   in Loop: Header=BB11_3 Depth=1
	s_or_b64 exec, exec, s[24:25]
	v_and_b32_e32 v58, 0xffff0000, v58
	v_fma_f32 v61, v58, v40, v9
	v_and_b32_e32 v58, 0x7f800000, v61
	v_cmp_ne_u32_e64 s[0:1], s6, v58
                                        ; implicit-def: $vgpr58
	s_and_saveexec_b64 s[24:25], s[0:1]
	s_xor_b64 s[0:1], exec, s[24:25]
; %bb.192:                              ;   in Loop: Header=BB11_3 Depth=1
	v_bfe_u32 v58, v61, 16, 1
	v_add3_u32 v58, v61, v58, s27
                                        ; implicit-def: $vgpr61
; %bb.193:                              ;   in Loop: Header=BB11_3 Depth=1
	s_andn2_saveexec_b64 s[24:25], s[0:1]
; %bb.194:                              ;   in Loop: Header=BB11_3 Depth=1
	v_or_b32_e32 v58, 0x10000, v61
	v_cmp_eq_u32_sdwa s[0:1], v61, v36 src0_sel:WORD_0 src1_sel:DWORD
	v_cndmask_b32_e64 v58, v58, v61, s[0:1]
; %bb.195:                              ;   in Loop: Header=BB11_3 Depth=1
	s_or_b64 exec, exec, s[24:25]
	v_and_b32_e32 v59, 0xffff0000, v59
	v_fma_f32 v61, v59, v40, v9
	v_and_b32_e32 v59, 0x7f800000, v61
	v_cmp_ne_u32_e64 s[0:1], s6, v59
                                        ; implicit-def: $vgpr59
	s_and_saveexec_b64 s[24:25], s[0:1]
	s_xor_b64 s[0:1], exec, s[24:25]
; %bb.196:                              ;   in Loop: Header=BB11_3 Depth=1
	v_bfe_u32 v59, v61, 16, 1
	v_add3_u32 v59, v61, v59, s27
                                        ; implicit-def: $vgpr61
; %bb.197:                              ;   in Loop: Header=BB11_3 Depth=1
	s_andn2_saveexec_b64 s[24:25], s[0:1]
; %bb.198:                              ;   in Loop: Header=BB11_3 Depth=1
	v_or_b32_e32 v59, 0x10000, v61
	v_cmp_eq_u32_sdwa s[0:1], v61, v36 src0_sel:WORD_0 src1_sel:DWORD
	v_cndmask_b32_e64 v59, v59, v61, s[0:1]
; %bb.199:                              ;   in Loop: Header=BB11_3 Depth=1
	s_or_b64 exec, exec, s[24:25]
	v_and_b32_e32 v60, 0xffff0000, v60
	v_fma_f32 v61, v60, v40, v9
	v_and_b32_e32 v60, 0x7f800000, v61
	v_cmp_ne_u32_e64 s[0:1], s6, v60
                                        ; implicit-def: $vgpr60
	s_and_saveexec_b64 s[24:25], s[0:1]
	s_xor_b64 s[0:1], exec, s[24:25]
; %bb.200:                              ;   in Loop: Header=BB11_3 Depth=1
	v_bfe_u32 v60, v61, 16, 1
	v_add3_u32 v60, v61, v60, s27
                                        ; implicit-def: $vgpr61
; %bb.201:                              ;   in Loop: Header=BB11_3 Depth=1
	s_andn2_saveexec_b64 s[24:25], s[0:1]
; %bb.202:                              ;   in Loop: Header=BB11_3 Depth=1
	v_or_b32_e32 v60, 0x10000, v61
	v_cmp_eq_u32_sdwa s[0:1], v61, v36 src0_sel:WORD_0 src1_sel:DWORD
	v_cndmask_b32_e64 v60, v60, v61, s[0:1]
; %bb.203:                              ;   in Loop: Header=BB11_3 Depth=1
	s_or_b64 exec, exec, s[24:25]
	v_lshrrev_b32_e32 v62, 4, v7
	;;#ASMSTART
	v_and_or_b32 v61, v7, v37, v38
	;;#ASMEND
	;;#ASMSTART
	v_and_or_b32 v63, v62, v37, v38
	;;#ASMEND
	v_lshrrev_b32_e32 v62, 8, v7
	v_lshrrev_b32_e32 v7, 12, v7
	;;#ASMSTART
	v_and_or_b32 v65, v62, v37, v38
	;;#ASMEND
	;;#ASMSTART
	v_and_or_b32 v67, v7, v37, v38
	;;#ASMEND
	v_lshlrev_b32_e32 v7, 16, v61
	v_add_f32_e32 v62, 0xc3080000, v7
	v_and_b32_e32 v7, 0x7f800000, v62
	v_cmp_ne_u32_e64 s[0:1], s6, v7
                                        ; implicit-def: $vgpr7
	s_and_saveexec_b64 s[24:25], s[0:1]
	s_xor_b64 s[0:1], exec, s[24:25]
; %bb.204:                              ;   in Loop: Header=BB11_3 Depth=1
	v_bfe_u32 v7, v62, 16, 1
	v_add3_u32 v7, v62, v7, s27
                                        ; implicit-def: $vgpr62
; %bb.205:                              ;   in Loop: Header=BB11_3 Depth=1
	s_andn2_saveexec_b64 s[24:25], s[0:1]
; %bb.206:                              ;   in Loop: Header=BB11_3 Depth=1
	v_or_b32_e32 v7, 0x10000, v62
	v_cmp_eq_u32_sdwa s[0:1], v62, v36 src0_sel:WORD_0 src1_sel:DWORD
	v_cndmask_b32_e64 v7, v7, v62, s[0:1]
; %bb.207:                              ;   in Loop: Header=BB11_3 Depth=1
	s_or_b64 exec, exec, s[24:25]
	v_and_b32_e32 v61, 0xffff0000, v61
	v_add_f32_e32 v62, 0xc3080000, v61
	v_and_b32_e32 v61, 0x7f800000, v62
	v_cmp_ne_u32_e64 s[0:1], s6, v61
                                        ; implicit-def: $vgpr61
	s_and_saveexec_b64 s[24:25], s[0:1]
	s_xor_b64 s[0:1], exec, s[24:25]
; %bb.208:                              ;   in Loop: Header=BB11_3 Depth=1
	v_bfe_u32 v61, v62, 16, 1
	v_add3_u32 v61, v62, v61, s27
                                        ; implicit-def: $vgpr62
; %bb.209:                              ;   in Loop: Header=BB11_3 Depth=1
	s_andn2_saveexec_b64 s[24:25], s[0:1]
; %bb.210:                              ;   in Loop: Header=BB11_3 Depth=1
	v_or_b32_e32 v61, 0x10000, v62
	v_cmp_eq_u32_sdwa s[0:1], v62, v36 src0_sel:WORD_0 src1_sel:DWORD
	v_cndmask_b32_e64 v61, v61, v62, s[0:1]
; %bb.211:                              ;   in Loop: Header=BB11_3 Depth=1
	s_or_b64 exec, exec, s[24:25]
	v_lshlrev_b32_e32 v62, 16, v63
	v_add_f32_e32 v64, 0xc3080000, v62
	v_and_b32_e32 v62, 0x7f800000, v64
	v_cmp_ne_u32_e64 s[0:1], s6, v62
                                        ; implicit-def: $vgpr62
	s_and_saveexec_b64 s[24:25], s[0:1]
	s_xor_b64 s[0:1], exec, s[24:25]
; %bb.212:                              ;   in Loop: Header=BB11_3 Depth=1
	v_bfe_u32 v62, v64, 16, 1
	v_add3_u32 v62, v64, v62, s27
                                        ; implicit-def: $vgpr64
; %bb.213:                              ;   in Loop: Header=BB11_3 Depth=1
	s_andn2_saveexec_b64 s[24:25], s[0:1]
; %bb.214:                              ;   in Loop: Header=BB11_3 Depth=1
	v_or_b32_e32 v62, 0x10000, v64
	v_cmp_eq_u32_sdwa s[0:1], v64, v36 src0_sel:WORD_0 src1_sel:DWORD
	v_cndmask_b32_e64 v62, v62, v64, s[0:1]
; %bb.215:                              ;   in Loop: Header=BB11_3 Depth=1
	s_or_b64 exec, exec, s[24:25]
	v_and_b32_e32 v63, 0xffff0000, v63
	v_add_f32_e32 v64, 0xc3080000, v63
	v_and_b32_e32 v63, 0x7f800000, v64
	v_cmp_ne_u32_e64 s[0:1], s6, v63
                                        ; implicit-def: $vgpr63
	s_and_saveexec_b64 s[24:25], s[0:1]
	s_xor_b64 s[0:1], exec, s[24:25]
; %bb.216:                              ;   in Loop: Header=BB11_3 Depth=1
	v_bfe_u32 v63, v64, 16, 1
	v_add3_u32 v63, v64, v63, s27
                                        ; implicit-def: $vgpr64
; %bb.217:                              ;   in Loop: Header=BB11_3 Depth=1
	s_andn2_saveexec_b64 s[24:25], s[0:1]
; %bb.218:                              ;   in Loop: Header=BB11_3 Depth=1
	v_or_b32_e32 v63, 0x10000, v64
	v_cmp_eq_u32_sdwa s[0:1], v64, v36 src0_sel:WORD_0 src1_sel:DWORD
	v_cndmask_b32_e64 v63, v63, v64, s[0:1]
; %bb.219:                              ;   in Loop: Header=BB11_3 Depth=1
	s_or_b64 exec, exec, s[24:25]
	v_lshlrev_b32_e32 v64, 16, v65
	v_add_f32_e32 v66, 0xc3080000, v64
	v_and_b32_e32 v64, 0x7f800000, v66
	v_cmp_ne_u32_e64 s[0:1], s6, v64
                                        ; implicit-def: $vgpr64
	s_and_saveexec_b64 s[24:25], s[0:1]
	s_xor_b64 s[0:1], exec, s[24:25]
; %bb.220:                              ;   in Loop: Header=BB11_3 Depth=1
	v_bfe_u32 v64, v66, 16, 1
	v_add3_u32 v64, v66, v64, s27
                                        ; implicit-def: $vgpr66
; %bb.221:                              ;   in Loop: Header=BB11_3 Depth=1
	s_andn2_saveexec_b64 s[24:25], s[0:1]
; %bb.222:                              ;   in Loop: Header=BB11_3 Depth=1
	v_or_b32_e32 v64, 0x10000, v66
	v_cmp_eq_u32_sdwa s[0:1], v66, v36 src0_sel:WORD_0 src1_sel:DWORD
	v_cndmask_b32_e64 v64, v64, v66, s[0:1]
; %bb.223:                              ;   in Loop: Header=BB11_3 Depth=1
	s_or_b64 exec, exec, s[24:25]
	v_and_b32_e32 v65, 0xffff0000, v65
	v_add_f32_e32 v66, 0xc3080000, v65
	v_and_b32_e32 v65, 0x7f800000, v66
	v_cmp_ne_u32_e64 s[0:1], s6, v65
                                        ; implicit-def: $vgpr65
	s_and_saveexec_b64 s[24:25], s[0:1]
	s_xor_b64 s[0:1], exec, s[24:25]
; %bb.224:                              ;   in Loop: Header=BB11_3 Depth=1
	v_bfe_u32 v65, v66, 16, 1
	v_add3_u32 v65, v66, v65, s27
                                        ; implicit-def: $vgpr66
; %bb.225:                              ;   in Loop: Header=BB11_3 Depth=1
	s_andn2_saveexec_b64 s[24:25], s[0:1]
; %bb.226:                              ;   in Loop: Header=BB11_3 Depth=1
	v_or_b32_e32 v65, 0x10000, v66
	v_cmp_eq_u32_sdwa s[0:1], v66, v36 src0_sel:WORD_0 src1_sel:DWORD
	v_cndmask_b32_e64 v65, v65, v66, s[0:1]
; %bb.227:                              ;   in Loop: Header=BB11_3 Depth=1
	s_or_b64 exec, exec, s[24:25]
	v_lshlrev_b32_e32 v66, 16, v67
	v_add_f32_e32 v68, 0xc3080000, v66
	v_and_b32_e32 v66, 0x7f800000, v68
	v_cmp_ne_u32_e64 s[0:1], s6, v66
                                        ; implicit-def: $vgpr66
	s_and_saveexec_b64 s[24:25], s[0:1]
	s_xor_b64 s[0:1], exec, s[24:25]
; %bb.228:                              ;   in Loop: Header=BB11_3 Depth=1
	v_bfe_u32 v66, v68, 16, 1
	v_add3_u32 v66, v68, v66, s27
                                        ; implicit-def: $vgpr68
; %bb.229:                              ;   in Loop: Header=BB11_3 Depth=1
	s_andn2_saveexec_b64 s[24:25], s[0:1]
; %bb.230:                              ;   in Loop: Header=BB11_3 Depth=1
	v_or_b32_e32 v66, 0x10000, v68
	v_cmp_eq_u32_sdwa s[0:1], v68, v36 src0_sel:WORD_0 src1_sel:DWORD
	v_cndmask_b32_e64 v66, v66, v68, s[0:1]
; %bb.231:                              ;   in Loop: Header=BB11_3 Depth=1
	s_or_b64 exec, exec, s[24:25]
	v_and_b32_e32 v67, 0xffff0000, v67
	v_add_f32_e32 v68, 0xc3080000, v67
	v_and_b32_e32 v67, 0x7f800000, v68
	v_cmp_ne_u32_e64 s[0:1], s6, v67
                                        ; implicit-def: $vgpr67
	s_and_saveexec_b64 s[24:25], s[0:1]
	s_xor_b64 s[0:1], exec, s[24:25]
; %bb.232:                              ;   in Loop: Header=BB11_3 Depth=1
	v_bfe_u32 v67, v68, 16, 1
	v_add3_u32 v67, v68, v67, s27
                                        ; implicit-def: $vgpr68
; %bb.233:                              ;   in Loop: Header=BB11_3 Depth=1
	s_andn2_saveexec_b64 s[24:25], s[0:1]
; %bb.234:                              ;   in Loop: Header=BB11_3 Depth=1
	v_or_b32_e32 v67, 0x10000, v68
	v_cmp_eq_u32_sdwa s[0:1], v68, v36 src0_sel:WORD_0 src1_sel:DWORD
	v_cndmask_b32_e64 v67, v67, v68, s[0:1]
; %bb.235:                              ;   in Loop: Header=BB11_3 Depth=1
	s_or_b64 exec, exec, s[24:25]
	v_and_b32_e32 v7, 0xffff0000, v7
	v_fma_f32 v68, v7, v40, v9
	v_and_b32_e32 v7, 0x7f800000, v68
	v_cmp_ne_u32_e64 s[0:1], s6, v7
                                        ; implicit-def: $vgpr7
	s_and_saveexec_b64 s[24:25], s[0:1]
	s_xor_b64 s[0:1], exec, s[24:25]
; %bb.236:                              ;   in Loop: Header=BB11_3 Depth=1
	v_bfe_u32 v7, v68, 16, 1
	v_add3_u32 v7, v68, v7, s27
                                        ; implicit-def: $vgpr68
; %bb.237:                              ;   in Loop: Header=BB11_3 Depth=1
	s_andn2_saveexec_b64 s[24:25], s[0:1]
; %bb.238:                              ;   in Loop: Header=BB11_3 Depth=1
	v_or_b32_e32 v7, 0x10000, v68
	v_cmp_eq_u32_sdwa s[0:1], v68, v36 src0_sel:WORD_0 src1_sel:DWORD
	v_cndmask_b32_e64 v7, v7, v68, s[0:1]
; %bb.239:                              ;   in Loop: Header=BB11_3 Depth=1
	s_or_b64 exec, exec, s[24:25]
	v_and_b32_e32 v61, 0xffff0000, v61
	v_fma_f32 v68, v61, v40, v9
	v_and_b32_e32 v61, 0x7f800000, v68
	v_cmp_ne_u32_e64 s[0:1], s6, v61
                                        ; implicit-def: $vgpr61
	s_and_saveexec_b64 s[24:25], s[0:1]
	s_xor_b64 s[0:1], exec, s[24:25]
; %bb.240:                              ;   in Loop: Header=BB11_3 Depth=1
	v_bfe_u32 v61, v68, 16, 1
	v_add3_u32 v61, v68, v61, s27
                                        ; implicit-def: $vgpr68
; %bb.241:                              ;   in Loop: Header=BB11_3 Depth=1
	s_andn2_saveexec_b64 s[24:25], s[0:1]
; %bb.242:                              ;   in Loop: Header=BB11_3 Depth=1
	v_or_b32_e32 v61, 0x10000, v68
	v_cmp_eq_u32_sdwa s[0:1], v68, v36 src0_sel:WORD_0 src1_sel:DWORD
	v_cndmask_b32_e64 v61, v61, v68, s[0:1]
; %bb.243:                              ;   in Loop: Header=BB11_3 Depth=1
	s_or_b64 exec, exec, s[24:25]
	v_and_b32_e32 v62, 0xffff0000, v62
	v_fma_f32 v68, v62, v40, v9
	v_and_b32_e32 v62, 0x7f800000, v68
	v_cmp_ne_u32_e64 s[0:1], s6, v62
                                        ; implicit-def: $vgpr62
	s_and_saveexec_b64 s[24:25], s[0:1]
	s_xor_b64 s[0:1], exec, s[24:25]
; %bb.244:                              ;   in Loop: Header=BB11_3 Depth=1
	v_bfe_u32 v62, v68, 16, 1
	v_add3_u32 v62, v68, v62, s27
                                        ; implicit-def: $vgpr68
; %bb.245:                              ;   in Loop: Header=BB11_3 Depth=1
	s_andn2_saveexec_b64 s[24:25], s[0:1]
; %bb.246:                              ;   in Loop: Header=BB11_3 Depth=1
	v_or_b32_e32 v62, 0x10000, v68
	v_cmp_eq_u32_sdwa s[0:1], v68, v36 src0_sel:WORD_0 src1_sel:DWORD
	v_cndmask_b32_e64 v62, v62, v68, s[0:1]
; %bb.247:                              ;   in Loop: Header=BB11_3 Depth=1
	s_or_b64 exec, exec, s[24:25]
	v_and_b32_e32 v63, 0xffff0000, v63
	v_fma_f32 v68, v63, v40, v9
	v_and_b32_e32 v63, 0x7f800000, v68
	v_cmp_ne_u32_e64 s[0:1], s6, v63
                                        ; implicit-def: $vgpr63
	s_and_saveexec_b64 s[24:25], s[0:1]
	s_xor_b64 s[0:1], exec, s[24:25]
; %bb.248:                              ;   in Loop: Header=BB11_3 Depth=1
	v_bfe_u32 v63, v68, 16, 1
	v_add3_u32 v63, v68, v63, s27
                                        ; implicit-def: $vgpr68
; %bb.249:                              ;   in Loop: Header=BB11_3 Depth=1
	s_andn2_saveexec_b64 s[24:25], s[0:1]
; %bb.250:                              ;   in Loop: Header=BB11_3 Depth=1
	v_or_b32_e32 v63, 0x10000, v68
	v_cmp_eq_u32_sdwa s[0:1], v68, v36 src0_sel:WORD_0 src1_sel:DWORD
	v_cndmask_b32_e64 v63, v63, v68, s[0:1]
; %bb.251:                              ;   in Loop: Header=BB11_3 Depth=1
	s_or_b64 exec, exec, s[24:25]
	v_and_b32_e32 v64, 0xffff0000, v64
	v_fma_f32 v68, v64, v40, v9
	v_and_b32_e32 v64, 0x7f800000, v68
	v_cmp_ne_u32_e64 s[0:1], s6, v64
                                        ; implicit-def: $vgpr64
	s_and_saveexec_b64 s[24:25], s[0:1]
	s_xor_b64 s[0:1], exec, s[24:25]
; %bb.252:                              ;   in Loop: Header=BB11_3 Depth=1
	v_bfe_u32 v64, v68, 16, 1
	v_add3_u32 v64, v68, v64, s27
                                        ; implicit-def: $vgpr68
; %bb.253:                              ;   in Loop: Header=BB11_3 Depth=1
	s_andn2_saveexec_b64 s[24:25], s[0:1]
; %bb.254:                              ;   in Loop: Header=BB11_3 Depth=1
	v_or_b32_e32 v64, 0x10000, v68
	v_cmp_eq_u32_sdwa s[0:1], v68, v36 src0_sel:WORD_0 src1_sel:DWORD
	v_cndmask_b32_e64 v64, v64, v68, s[0:1]
; %bb.255:                              ;   in Loop: Header=BB11_3 Depth=1
	s_or_b64 exec, exec, s[24:25]
	v_and_b32_e32 v65, 0xffff0000, v65
	v_fma_f32 v68, v65, v40, v9
	v_and_b32_e32 v65, 0x7f800000, v68
	v_cmp_ne_u32_e64 s[0:1], s6, v65
                                        ; implicit-def: $vgpr65
	s_and_saveexec_b64 s[24:25], s[0:1]
	s_xor_b64 s[0:1], exec, s[24:25]
; %bb.256:                              ;   in Loop: Header=BB11_3 Depth=1
	v_bfe_u32 v65, v68, 16, 1
	v_add3_u32 v65, v68, v65, s27
                                        ; implicit-def: $vgpr68
; %bb.257:                              ;   in Loop: Header=BB11_3 Depth=1
	s_andn2_saveexec_b64 s[24:25], s[0:1]
; %bb.258:                              ;   in Loop: Header=BB11_3 Depth=1
	v_or_b32_e32 v65, 0x10000, v68
	v_cmp_eq_u32_sdwa s[0:1], v68, v36 src0_sel:WORD_0 src1_sel:DWORD
	v_cndmask_b32_e64 v65, v65, v68, s[0:1]
; %bb.259:                              ;   in Loop: Header=BB11_3 Depth=1
	s_or_b64 exec, exec, s[24:25]
	v_and_b32_e32 v66, 0xffff0000, v66
	v_fma_f32 v68, v66, v40, v9
	v_and_b32_e32 v66, 0x7f800000, v68
	v_cmp_ne_u32_e64 s[0:1], s6, v66
                                        ; implicit-def: $vgpr66
	s_and_saveexec_b64 s[24:25], s[0:1]
	s_xor_b64 s[0:1], exec, s[24:25]
; %bb.260:                              ;   in Loop: Header=BB11_3 Depth=1
	v_bfe_u32 v66, v68, 16, 1
	v_add3_u32 v66, v68, v66, s27
                                        ; implicit-def: $vgpr68
; %bb.261:                              ;   in Loop: Header=BB11_3 Depth=1
	s_andn2_saveexec_b64 s[24:25], s[0:1]
; %bb.262:                              ;   in Loop: Header=BB11_3 Depth=1
	v_or_b32_e32 v66, 0x10000, v68
	v_cmp_eq_u32_sdwa s[0:1], v68, v36 src0_sel:WORD_0 src1_sel:DWORD
	v_cndmask_b32_e64 v66, v66, v68, s[0:1]
; %bb.263:                              ;   in Loop: Header=BB11_3 Depth=1
	s_or_b64 exec, exec, s[24:25]
	v_and_b32_e32 v67, 0xffff0000, v67
	v_fmac_f32_e32 v9, v67, v40
	v_and_b32_e32 v40, 0x7f800000, v9
	v_cmp_ne_u32_e64 s[0:1], s6, v40
                                        ; implicit-def: $vgpr40
	s_and_saveexec_b64 s[24:25], s[0:1]
	s_xor_b64 s[0:1], exec, s[24:25]
; %bb.264:                              ;   in Loop: Header=BB11_3 Depth=1
	v_bfe_u32 v40, v9, 16, 1
	v_add3_u32 v40, v9, v40, s27
                                        ; implicit-def: $vgpr9
; %bb.265:                              ;   in Loop: Header=BB11_3 Depth=1
	s_andn2_saveexec_b64 s[24:25], s[0:1]
	s_cbranch_execz .LBB11_2
; %bb.266:                              ;   in Loop: Header=BB11_3 Depth=1
	v_or_b32_e32 v40, 0x10000, v9
	v_cmp_eq_u32_sdwa s[0:1], v9, v36 src0_sel:WORD_0 src1_sel:DWORD
	v_cndmask_b32_e64 v40, v40, v9, s[0:1]
	s_branch .LBB11_2
.LBB11_267:
	s_or_b64 exec, exec, s[10:11]
.LBB11_268:
	s_or_b64 exec, exec, s[4:5]
	v_add_u32_e32 v24, s19, v31
	v_cmp_gt_u32_e32 vcc, s3, v24
	s_and_saveexec_b64 s[0:1], vcc
	s_cbranch_execz .LBB11_534
; %bb.269:
	v_lshl_or_b32 v8, s8, 4, v29
	v_mul_lo_u32 v6, v8, s18
	v_ashrrev_i32_e32 v7, 31, v6
	v_and_b32_e32 v4, 0xfc, v27
	v_lshlrev_b64 v[6:7], 1, v[6:7]
	v_lshl_add_u32 v4, v24, 4, v4
	v_mov_b32_e32 v5, s21
	v_add_co_u32_e32 v6, vcc, s20, v6
	v_addc_co_u32_e32 v7, vcc, v5, v7, vcc
	v_ashrrev_i32_e32 v5, 31, v4
	v_lshlrev_b64 v[4:5], 1, v[4:5]
	v_add_co_u32_e32 v4, vcc, v6, v4
	v_addc_co_u32_e32 v5, vcc, v7, v5, vcc
	v_cmp_gt_i32_e32 vcc, s16, v8
	v_mov_b32_e32 v8, 0
	v_mov_b32_e32 v14, 0
	;; [unrolled: 1-line block ×5, first 2 shown]
	s_and_saveexec_b64 s[4:5], vcc
	s_cbranch_execz .LBB11_271
; %bb.270:
	global_load_dwordx2 v[14:15], v[4:5], off
	global_load_dwordx2 v[12:13], v[4:5], off offset:32
.LBB11_271:
	s_or_b64 exec, exec, s[4:5]
	v_mov_b32_e32 v9, 0
	v_mov_b32_e32 v18, 0
	;; [unrolled: 1-line block ×3, first 2 shown]
	s_and_saveexec_b64 s[4:5], vcc
	s_cbranch_execz .LBB11_273
; %bb.272:
	global_load_dwordx2 v[8:9], v[4:5], off offset:64
	global_load_dwordx2 v[18:19], v[4:5], off offset:96
.LBB11_273:
	s_or_b64 exec, exec, s[4:5]
	v_mov_b32_e32 v10, 0
	v_mov_b32_e32 v22, 0
	;; [unrolled: 1-line block ×5, first 2 shown]
	s_and_saveexec_b64 s[4:5], vcc
	s_cbranch_execz .LBB11_275
; %bb.274:
	global_load_dwordx2 v[22:23], v[4:5], off offset:128
	global_load_dwordx2 v[20:21], v[4:5], off offset:160
.LBB11_275:
	s_or_b64 exec, exec, s[4:5]
	v_mov_b32_e32 v11, 0
	v_mov_b32_e32 v16, 0
	;; [unrolled: 1-line block ×3, first 2 shown]
	s_and_saveexec_b64 s[4:5], vcc
	s_cbranch_execz .LBB11_277
; %bb.276:
	global_load_dwordx2 v[10:11], v[4:5], off offset:192
	global_load_dwordx2 v[16:17], v[4:5], off offset:224
.LBB11_277:
	s_or_b64 exec, exec, s[4:5]
	v_lshrrev_b32_e32 v4, 3, v24
	v_add_u32_e32 v4, s9, v4
	v_lshl_or_b32 v25, s7, 4, v29
	v_ashrrev_i32_e32 v29, 31, v24
	v_lshl_add_u32 v4, v4, 8, v30
	v_lshrrev_b32_e32 v29, 28, v29
	v_ashrrev_i32_e32 v5, 31, v4
	v_add_u32_e32 v24, v24, v29
	v_lshlrev_b64 v[4:5], 2, v[4:5]
	v_lshrrev_b32_e32 v24, 4, v24
	v_mov_b32_e32 v6, s23
	v_add_co_u32_e32 v4, vcc, s22, v4
	v_mul_lo_u32 v24, s2, v24
	v_addc_co_u32_e32 v5, vcc, v6, v5, vcc
	v_lshlrev_b32_e32 v24, 4, v24
	global_load_dwordx4 v[4:7], v[4:5], off
	v_add_lshl_u32 v24, v25, v24, 1
	v_ashrrev_i32_e32 v25, 31, v24
	v_lshlrev_b64 v[24:25], 1, v[24:25]
	v_mov_b32_e32 v29, s13
	v_add_co_u32_e32 v24, vcc, s12, v24
	v_addc_co_u32_e32 v25, vcc, v29, v25, vcc
	global_load_dword v24, v[24:25], off
	v_mov_b32_e32 v29, 0xf000f
	v_mov_b32_e32 v30, 0x43004300
	s_waitcnt vmcnt(1)
	;;#ASMSTART
	v_and_or_b32 v25, v4, v29, v30
	;;#ASMEND
	s_mov_b32 s2, 0x7f800000
	v_lshrrev_b32_e32 v31, 4, v4
	v_lshrrev_b32_e32 v32, 8, v4
	;; [unrolled: 1-line block ×3, first 2 shown]
	;;#ASMSTART
	v_and_or_b32 v31, v31, v29, v30
	;;#ASMEND
	;;#ASMSTART
	v_and_or_b32 v33, v32, v29, v30
	;;#ASMEND
	;; [unrolled: 3-line block ×3, first 2 shown]
	v_lshlrev_b32_e32 v4, 16, v25
	v_add_f32_e32 v30, 0xc3080000, v4
	v_and_b32_e32 v4, 0x7f800000, v30
	v_cmp_ne_u32_e32 vcc, s2, v4
                                        ; implicit-def: $vgpr4
	s_and_saveexec_b64 s[2:3], vcc
	s_xor_b64 s[2:3], exec, s[2:3]
; %bb.278:
	v_bfe_u32 v4, v30, 16, 1
	s_movk_i32 s4, 0x7fff
	v_add3_u32 v4, v30, v4, s4
                                        ; implicit-def: $vgpr30
; %bb.279:
	s_andn2_saveexec_b64 s[2:3], s[2:3]
; %bb.280:
	v_mov_b32_e32 v4, 0
	v_or_b32_e32 v32, 0x10000, v30
	v_cmp_eq_u32_sdwa vcc, v30, v4 src0_sel:WORD_0 src1_sel:DWORD
	v_cndmask_b32_e32 v4, v32, v30, vcc
; %bb.281:
	s_or_b64 exec, exec, s[2:3]
	v_and_b32_e32 v25, 0xffff0000, v25
	v_add_f32_e32 v30, 0xc3080000, v25
	s_mov_b32 s2, 0x7f800000
	v_and_b32_e32 v25, 0x7f800000, v30
	v_cmp_ne_u32_e32 vcc, s2, v25
                                        ; implicit-def: $vgpr25
	s_and_saveexec_b64 s[2:3], vcc
	s_xor_b64 s[2:3], exec, s[2:3]
; %bb.282:
	v_bfe_u32 v25, v30, 16, 1
	s_movk_i32 s4, 0x7fff
	v_add3_u32 v25, v30, v25, s4
                                        ; implicit-def: $vgpr30
; %bb.283:
	s_andn2_saveexec_b64 s[2:3], s[2:3]
; %bb.284:
	v_mov_b32_e32 v25, 0
	v_or_b32_e32 v32, 0x10000, v30
	v_cmp_eq_u32_sdwa vcc, v30, v25 src0_sel:WORD_0 src1_sel:DWORD
	v_cndmask_b32_e32 v25, v32, v30, vcc
; %bb.285:
	s_or_b64 exec, exec, s[2:3]
	v_lshlrev_b32_e32 v30, 16, v31
	v_add_f32_e32 v32, 0xc3080000, v30
	s_mov_b32 s2, 0x7f800000
	v_and_b32_e32 v30, 0x7f800000, v32
	v_cmp_ne_u32_e32 vcc, s2, v30
                                        ; implicit-def: $vgpr30
	s_and_saveexec_b64 s[2:3], vcc
	s_xor_b64 s[2:3], exec, s[2:3]
; %bb.286:
	v_bfe_u32 v30, v32, 16, 1
	s_movk_i32 s4, 0x7fff
	v_add3_u32 v30, v32, v30, s4
                                        ; implicit-def: $vgpr32
; %bb.287:
	s_andn2_saveexec_b64 s[2:3], s[2:3]
; %bb.288:
	v_mov_b32_e32 v30, 0
	v_or_b32_e32 v34, 0x10000, v32
	v_cmp_eq_u32_sdwa vcc, v32, v30 src0_sel:WORD_0 src1_sel:DWORD
	v_cndmask_b32_e32 v30, v34, v32, vcc
; %bb.289:
	s_or_b64 exec, exec, s[2:3]
	v_and_b32_e32 v31, 0xffff0000, v31
	v_add_f32_e32 v32, 0xc3080000, v31
	s_mov_b32 s2, 0x7f800000
	v_and_b32_e32 v31, 0x7f800000, v32
	v_cmp_ne_u32_e32 vcc, s2, v31
                                        ; implicit-def: $vgpr31
	s_and_saveexec_b64 s[2:3], vcc
	s_xor_b64 s[2:3], exec, s[2:3]
; %bb.290:
	v_bfe_u32 v31, v32, 16, 1
	s_movk_i32 s4, 0x7fff
	v_add3_u32 v31, v32, v31, s4
                                        ; implicit-def: $vgpr32
; %bb.291:
	s_andn2_saveexec_b64 s[2:3], s[2:3]
; %bb.292:
	v_mov_b32_e32 v31, 0
	v_or_b32_e32 v34, 0x10000, v32
	v_cmp_eq_u32_sdwa vcc, v32, v31 src0_sel:WORD_0 src1_sel:DWORD
	v_cndmask_b32_e32 v31, v34, v32, vcc
; %bb.293:
	s_or_b64 exec, exec, s[2:3]
	v_lshlrev_b32_e32 v32, 16, v33
	v_add_f32_e32 v34, 0xc3080000, v32
	s_mov_b32 s2, 0x7f800000
	v_and_b32_e32 v32, 0x7f800000, v34
	v_cmp_ne_u32_e32 vcc, s2, v32
                                        ; implicit-def: $vgpr32
	s_and_saveexec_b64 s[2:3], vcc
	s_xor_b64 s[2:3], exec, s[2:3]
; %bb.294:
	v_bfe_u32 v32, v34, 16, 1
	s_movk_i32 s4, 0x7fff
	v_add3_u32 v32, v34, v32, s4
                                        ; implicit-def: $vgpr34
; %bb.295:
	s_andn2_saveexec_b64 s[2:3], s[2:3]
; %bb.296:
	v_mov_b32_e32 v32, 0
	v_or_b32_e32 v35, 0x10000, v34
	v_cmp_eq_u32_sdwa vcc, v34, v32 src0_sel:WORD_0 src1_sel:DWORD
	v_cndmask_b32_e32 v32, v35, v34, vcc
; %bb.297:
	s_or_b64 exec, exec, s[2:3]
	v_and_b32_e32 v33, 0xffff0000, v33
	v_add_f32_e32 v34, 0xc3080000, v33
	s_mov_b32 s2, 0x7f800000
	v_and_b32_e32 v33, 0x7f800000, v34
	v_cmp_ne_u32_e32 vcc, s2, v33
                                        ; implicit-def: $vgpr33
	s_and_saveexec_b64 s[2:3], vcc
	s_xor_b64 s[2:3], exec, s[2:3]
; %bb.298:
	v_bfe_u32 v33, v34, 16, 1
	s_movk_i32 s4, 0x7fff
	v_add3_u32 v33, v34, v33, s4
                                        ; implicit-def: $vgpr34
; %bb.299:
	s_andn2_saveexec_b64 s[2:3], s[2:3]
; %bb.300:
	v_mov_b32_e32 v33, 0
	v_or_b32_e32 v35, 0x10000, v34
	v_cmp_eq_u32_sdwa vcc, v34, v33 src0_sel:WORD_0 src1_sel:DWORD
	v_cndmask_b32_e32 v33, v35, v34, vcc
; %bb.301:
	s_or_b64 exec, exec, s[2:3]
	v_lshlrev_b32_e32 v34, 16, v29
	v_add_f32_e32 v35, 0xc3080000, v34
	s_mov_b32 s2, 0x7f800000
	v_and_b32_e32 v34, 0x7f800000, v35
	v_cmp_ne_u32_e32 vcc, s2, v34
                                        ; implicit-def: $vgpr34
	s_and_saveexec_b64 s[2:3], vcc
	s_xor_b64 s[2:3], exec, s[2:3]
; %bb.302:
	v_bfe_u32 v34, v35, 16, 1
	s_movk_i32 s4, 0x7fff
	v_add3_u32 v34, v35, v34, s4
                                        ; implicit-def: $vgpr35
; %bb.303:
	s_andn2_saveexec_b64 s[2:3], s[2:3]
; %bb.304:
	v_mov_b32_e32 v34, 0
	v_or_b32_e32 v36, 0x10000, v35
	v_cmp_eq_u32_sdwa vcc, v35, v34 src0_sel:WORD_0 src1_sel:DWORD
	v_cndmask_b32_e32 v34, v36, v35, vcc
; %bb.305:
	s_or_b64 exec, exec, s[2:3]
	v_and_b32_e32 v29, 0xffff0000, v29
	v_add_f32_e32 v29, 0xc3080000, v29
	s_mov_b32 s2, 0x7f800000
	v_and_b32_e32 v35, 0x7f800000, v29
	v_cmp_ne_u32_e32 vcc, s2, v35
                                        ; implicit-def: $vgpr35
	s_and_saveexec_b64 s[2:3], vcc
	s_xor_b64 s[2:3], exec, s[2:3]
; %bb.306:
	v_bfe_u32 v35, v29, 16, 1
	s_movk_i32 s4, 0x7fff
	v_add3_u32 v35, v29, v35, s4
                                        ; implicit-def: $vgpr29
; %bb.307:
	s_andn2_saveexec_b64 s[2:3], s[2:3]
; %bb.308:
	v_mov_b32_e32 v35, 0
	v_or_b32_e32 v36, 0x10000, v29
	v_cmp_eq_u32_sdwa vcc, v29, v35 src0_sel:WORD_0 src1_sel:DWORD
	v_cndmask_b32_e32 v35, v36, v29, vcc
; %bb.309:
	s_or_b64 exec, exec, s[2:3]
	v_and_b32_e32 v4, 0xffff0000, v4
	s_waitcnt vmcnt(0)
	v_lshlrev_b32_e32 v29, 16, v24
	v_and_b32_e32 v24, 0xffff0000, v24
	v_fma_f32 v36, v4, v29, v24
	s_mov_b32 s2, 0x7f800000
	v_and_b32_e32 v4, 0x7f800000, v36
	v_cmp_ne_u32_e32 vcc, s2, v4
                                        ; implicit-def: $vgpr4
	s_and_saveexec_b64 s[2:3], vcc
	s_xor_b64 s[2:3], exec, s[2:3]
; %bb.310:
	v_bfe_u32 v4, v36, 16, 1
	s_movk_i32 s4, 0x7fff
	v_add3_u32 v4, v36, v4, s4
                                        ; implicit-def: $vgpr36
; %bb.311:
	s_andn2_saveexec_b64 s[2:3], s[2:3]
; %bb.312:
	v_mov_b32_e32 v4, 0
	v_or_b32_e32 v37, 0x10000, v36
	v_cmp_eq_u32_sdwa vcc, v36, v4 src0_sel:WORD_0 src1_sel:DWORD
	v_cndmask_b32_e32 v4, v37, v36, vcc
; %bb.313:
	s_or_b64 exec, exec, s[2:3]
	v_and_b32_e32 v25, 0xffff0000, v25
	v_fma_f32 v36, v25, v29, v24
	s_mov_b32 s2, 0x7f800000
	v_and_b32_e32 v25, 0x7f800000, v36
	v_cmp_ne_u32_e32 vcc, s2, v25
                                        ; implicit-def: $vgpr25
	s_and_saveexec_b64 s[2:3], vcc
	s_xor_b64 s[2:3], exec, s[2:3]
; %bb.314:
	v_bfe_u32 v25, v36, 16, 1
	s_movk_i32 s4, 0x7fff
	v_add3_u32 v25, v36, v25, s4
                                        ; implicit-def: $vgpr36
; %bb.315:
	s_andn2_saveexec_b64 s[2:3], s[2:3]
; %bb.316:
	v_mov_b32_e32 v25, 0
	v_or_b32_e32 v37, 0x10000, v36
	v_cmp_eq_u32_sdwa vcc, v36, v25 src0_sel:WORD_0 src1_sel:DWORD
	v_cndmask_b32_e32 v25, v37, v36, vcc
; %bb.317:
	s_or_b64 exec, exec, s[2:3]
	v_and_b32_e32 v30, 0xffff0000, v30
	v_fma_f32 v36, v30, v29, v24
	s_mov_b32 s2, 0x7f800000
	v_and_b32_e32 v30, 0x7f800000, v36
	v_cmp_ne_u32_e32 vcc, s2, v30
                                        ; implicit-def: $vgpr30
	s_and_saveexec_b64 s[2:3], vcc
	s_xor_b64 s[2:3], exec, s[2:3]
; %bb.318:
	v_bfe_u32 v30, v36, 16, 1
	s_movk_i32 s4, 0x7fff
	v_add3_u32 v30, v36, v30, s4
                                        ; implicit-def: $vgpr36
; %bb.319:
	s_andn2_saveexec_b64 s[2:3], s[2:3]
; %bb.320:
	v_mov_b32_e32 v30, 0
	v_or_b32_e32 v37, 0x10000, v36
	v_cmp_eq_u32_sdwa vcc, v36, v30 src0_sel:WORD_0 src1_sel:DWORD
	v_cndmask_b32_e32 v30, v37, v36, vcc
; %bb.321:
	s_or_b64 exec, exec, s[2:3]
	v_and_b32_e32 v31, 0xffff0000, v31
	v_fma_f32 v36, v31, v29, v24
	s_mov_b32 s2, 0x7f800000
	v_and_b32_e32 v31, 0x7f800000, v36
	v_cmp_ne_u32_e32 vcc, s2, v31
                                        ; implicit-def: $vgpr31
	s_and_saveexec_b64 s[2:3], vcc
	s_xor_b64 s[2:3], exec, s[2:3]
; %bb.322:
	v_bfe_u32 v31, v36, 16, 1
	s_movk_i32 s4, 0x7fff
	v_add3_u32 v31, v36, v31, s4
                                        ; implicit-def: $vgpr36
; %bb.323:
	s_andn2_saveexec_b64 s[2:3], s[2:3]
; %bb.324:
	v_mov_b32_e32 v31, 0
	v_or_b32_e32 v37, 0x10000, v36
	v_cmp_eq_u32_sdwa vcc, v36, v31 src0_sel:WORD_0 src1_sel:DWORD
	v_cndmask_b32_e32 v31, v37, v36, vcc
; %bb.325:
	s_or_b64 exec, exec, s[2:3]
	v_and_b32_e32 v32, 0xffff0000, v32
	v_fma_f32 v36, v32, v29, v24
	s_mov_b32 s2, 0x7f800000
	v_and_b32_e32 v32, 0x7f800000, v36
	v_cmp_ne_u32_e32 vcc, s2, v32
                                        ; implicit-def: $vgpr32
	s_and_saveexec_b64 s[2:3], vcc
	s_xor_b64 s[2:3], exec, s[2:3]
; %bb.326:
	v_bfe_u32 v32, v36, 16, 1
	s_movk_i32 s4, 0x7fff
	v_add3_u32 v32, v36, v32, s4
                                        ; implicit-def: $vgpr36
; %bb.327:
	s_andn2_saveexec_b64 s[2:3], s[2:3]
; %bb.328:
	v_mov_b32_e32 v32, 0
	v_or_b32_e32 v37, 0x10000, v36
	v_cmp_eq_u32_sdwa vcc, v36, v32 src0_sel:WORD_0 src1_sel:DWORD
	v_cndmask_b32_e32 v32, v37, v36, vcc
; %bb.329:
	s_or_b64 exec, exec, s[2:3]
	v_and_b32_e32 v33, 0xffff0000, v33
	v_fma_f32 v36, v33, v29, v24
	s_mov_b32 s2, 0x7f800000
	v_and_b32_e32 v33, 0x7f800000, v36
	v_cmp_ne_u32_e32 vcc, s2, v33
                                        ; implicit-def: $vgpr33
	s_and_saveexec_b64 s[2:3], vcc
	s_xor_b64 s[2:3], exec, s[2:3]
; %bb.330:
	v_bfe_u32 v33, v36, 16, 1
	s_movk_i32 s4, 0x7fff
	v_add3_u32 v33, v36, v33, s4
                                        ; implicit-def: $vgpr36
; %bb.331:
	s_andn2_saveexec_b64 s[2:3], s[2:3]
; %bb.332:
	v_mov_b32_e32 v33, 0
	v_or_b32_e32 v37, 0x10000, v36
	v_cmp_eq_u32_sdwa vcc, v36, v33 src0_sel:WORD_0 src1_sel:DWORD
	v_cndmask_b32_e32 v33, v37, v36, vcc
; %bb.333:
	s_or_b64 exec, exec, s[2:3]
	v_and_b32_e32 v34, 0xffff0000, v34
	v_fma_f32 v36, v34, v29, v24
	s_mov_b32 s2, 0x7f800000
	v_and_b32_e32 v34, 0x7f800000, v36
	v_cmp_ne_u32_e32 vcc, s2, v34
                                        ; implicit-def: $vgpr34
	s_and_saveexec_b64 s[2:3], vcc
	s_xor_b64 s[2:3], exec, s[2:3]
; %bb.334:
	v_bfe_u32 v34, v36, 16, 1
	s_movk_i32 s4, 0x7fff
	v_add3_u32 v34, v36, v34, s4
                                        ; implicit-def: $vgpr36
; %bb.335:
	s_andn2_saveexec_b64 s[2:3], s[2:3]
; %bb.336:
	v_mov_b32_e32 v34, 0
	v_or_b32_e32 v37, 0x10000, v36
	v_cmp_eq_u32_sdwa vcc, v36, v34 src0_sel:WORD_0 src1_sel:DWORD
	v_cndmask_b32_e32 v34, v37, v36, vcc
; %bb.337:
	s_or_b64 exec, exec, s[2:3]
	v_and_b32_e32 v35, 0xffff0000, v35
	v_fma_f32 v36, v35, v29, v24
	s_mov_b32 s2, 0x7f800000
	v_and_b32_e32 v35, 0x7f800000, v36
	v_cmp_ne_u32_e32 vcc, s2, v35
                                        ; implicit-def: $vgpr35
	s_and_saveexec_b64 s[2:3], vcc
	s_xor_b64 s[2:3], exec, s[2:3]
; %bb.338:
	v_bfe_u32 v35, v36, 16, 1
	s_movk_i32 s4, 0x7fff
	v_add3_u32 v35, v36, v35, s4
                                        ; implicit-def: $vgpr36
; %bb.339:
	s_andn2_saveexec_b64 s[2:3], s[2:3]
; %bb.340:
	v_mov_b32_e32 v35, 0
	v_or_b32_e32 v37, 0x10000, v36
	v_cmp_eq_u32_sdwa vcc, v36, v35 src0_sel:WORD_0 src1_sel:DWORD
	v_cndmask_b32_e32 v35, v37, v36, vcc
; %bb.341:
	s_or_b64 exec, exec, s[2:3]
	v_mov_b32_e32 v37, 0xf000f
	v_mov_b32_e32 v39, 0x43004300
	;;#ASMSTART
	v_and_or_b32 v36, v5, v37, v39
	;;#ASMEND
	v_lshrrev_b32_e32 v38, 4, v5
	v_lshrrev_b32_e32 v40, 8, v5
	;; [unrolled: 1-line block ×3, first 2 shown]
	;;#ASMSTART
	v_and_or_b32 v38, v38, v37, v39
	;;#ASMEND
	;;#ASMSTART
	v_and_or_b32 v40, v40, v37, v39
	;;#ASMEND
	;;#ASMSTART
	v_and_or_b32 v42, v5, v37, v39
	;;#ASMEND
	v_lshlrev_b32_e32 v5, 16, v36
	v_add_f32_e32 v37, 0xc3080000, v5
	s_mov_b32 s2, 0x7f800000
	v_and_b32_e32 v5, 0x7f800000, v37
	v_cmp_ne_u32_e32 vcc, s2, v5
                                        ; implicit-def: $vgpr5
	s_and_saveexec_b64 s[2:3], vcc
	s_xor_b64 s[2:3], exec, s[2:3]
; %bb.342:
	v_bfe_u32 v5, v37, 16, 1
	s_movk_i32 s4, 0x7fff
	v_add3_u32 v5, v37, v5, s4
                                        ; implicit-def: $vgpr37
; %bb.343:
	s_andn2_saveexec_b64 s[2:3], s[2:3]
; %bb.344:
	v_mov_b32_e32 v5, 0
	v_or_b32_e32 v39, 0x10000, v37
	v_cmp_eq_u32_sdwa vcc, v37, v5 src0_sel:WORD_0 src1_sel:DWORD
	v_cndmask_b32_e32 v5, v39, v37, vcc
; %bb.345:
	s_or_b64 exec, exec, s[2:3]
	v_and_b32_e32 v36, 0xffff0000, v36
	v_add_f32_e32 v37, 0xc3080000, v36
	s_mov_b32 s2, 0x7f800000
	v_and_b32_e32 v36, 0x7f800000, v37
	v_cmp_ne_u32_e32 vcc, s2, v36
                                        ; implicit-def: $vgpr36
	s_and_saveexec_b64 s[2:3], vcc
	s_xor_b64 s[2:3], exec, s[2:3]
; %bb.346:
	v_bfe_u32 v36, v37, 16, 1
	s_movk_i32 s4, 0x7fff
	v_add3_u32 v36, v37, v36, s4
                                        ; implicit-def: $vgpr37
; %bb.347:
	s_andn2_saveexec_b64 s[2:3], s[2:3]
; %bb.348:
	v_mov_b32_e32 v36, 0
	v_or_b32_e32 v39, 0x10000, v37
	v_cmp_eq_u32_sdwa vcc, v37, v36 src0_sel:WORD_0 src1_sel:DWORD
	v_cndmask_b32_e32 v36, v39, v37, vcc
; %bb.349:
	s_or_b64 exec, exec, s[2:3]
	v_lshlrev_b32_e32 v37, 16, v38
	v_add_f32_e32 v39, 0xc3080000, v37
	s_mov_b32 s2, 0x7f800000
	v_and_b32_e32 v37, 0x7f800000, v39
	v_cmp_ne_u32_e32 vcc, s2, v37
                                        ; implicit-def: $vgpr37
	s_and_saveexec_b64 s[2:3], vcc
	s_xor_b64 s[2:3], exec, s[2:3]
; %bb.350:
	v_bfe_u32 v37, v39, 16, 1
	s_movk_i32 s4, 0x7fff
	v_add3_u32 v37, v39, v37, s4
                                        ; implicit-def: $vgpr39
; %bb.351:
	s_andn2_saveexec_b64 s[2:3], s[2:3]
; %bb.352:
	v_mov_b32_e32 v37, 0
	v_or_b32_e32 v41, 0x10000, v39
	v_cmp_eq_u32_sdwa vcc, v39, v37 src0_sel:WORD_0 src1_sel:DWORD
	v_cndmask_b32_e32 v37, v41, v39, vcc
; %bb.353:
	s_or_b64 exec, exec, s[2:3]
	v_and_b32_e32 v38, 0xffff0000, v38
	v_add_f32_e32 v39, 0xc3080000, v38
	s_mov_b32 s2, 0x7f800000
	v_and_b32_e32 v38, 0x7f800000, v39
	v_cmp_ne_u32_e32 vcc, s2, v38
                                        ; implicit-def: $vgpr38
	s_and_saveexec_b64 s[2:3], vcc
	s_xor_b64 s[2:3], exec, s[2:3]
; %bb.354:
	v_bfe_u32 v38, v39, 16, 1
	s_movk_i32 s4, 0x7fff
	v_add3_u32 v38, v39, v38, s4
                                        ; implicit-def: $vgpr39
; %bb.355:
	s_andn2_saveexec_b64 s[2:3], s[2:3]
; %bb.356:
	v_mov_b32_e32 v38, 0
	v_or_b32_e32 v41, 0x10000, v39
	v_cmp_eq_u32_sdwa vcc, v39, v38 src0_sel:WORD_0 src1_sel:DWORD
	v_cndmask_b32_e32 v38, v41, v39, vcc
; %bb.357:
	s_or_b64 exec, exec, s[2:3]
	v_lshlrev_b32_e32 v39, 16, v40
	v_add_f32_e32 v41, 0xc3080000, v39
	s_mov_b32 s2, 0x7f800000
	v_and_b32_e32 v39, 0x7f800000, v41
	v_cmp_ne_u32_e32 vcc, s2, v39
                                        ; implicit-def: $vgpr39
	s_and_saveexec_b64 s[2:3], vcc
	s_xor_b64 s[2:3], exec, s[2:3]
; %bb.358:
	v_bfe_u32 v39, v41, 16, 1
	s_movk_i32 s4, 0x7fff
	v_add3_u32 v39, v41, v39, s4
                                        ; implicit-def: $vgpr41
; %bb.359:
	s_andn2_saveexec_b64 s[2:3], s[2:3]
; %bb.360:
	v_mov_b32_e32 v39, 0
	v_or_b32_e32 v43, 0x10000, v41
	v_cmp_eq_u32_sdwa vcc, v41, v39 src0_sel:WORD_0 src1_sel:DWORD
	v_cndmask_b32_e32 v39, v43, v41, vcc
; %bb.361:
	s_or_b64 exec, exec, s[2:3]
	v_and_b32_e32 v40, 0xffff0000, v40
	v_add_f32_e32 v41, 0xc3080000, v40
	s_mov_b32 s2, 0x7f800000
	v_and_b32_e32 v40, 0x7f800000, v41
	v_cmp_ne_u32_e32 vcc, s2, v40
                                        ; implicit-def: $vgpr40
	s_and_saveexec_b64 s[2:3], vcc
	s_xor_b64 s[2:3], exec, s[2:3]
; %bb.362:
	v_bfe_u32 v40, v41, 16, 1
	s_movk_i32 s4, 0x7fff
	v_add3_u32 v40, v41, v40, s4
                                        ; implicit-def: $vgpr41
; %bb.363:
	s_andn2_saveexec_b64 s[2:3], s[2:3]
; %bb.364:
	v_mov_b32_e32 v40, 0
	v_or_b32_e32 v43, 0x10000, v41
	v_cmp_eq_u32_sdwa vcc, v41, v40 src0_sel:WORD_0 src1_sel:DWORD
	v_cndmask_b32_e32 v40, v43, v41, vcc
; %bb.365:
	s_or_b64 exec, exec, s[2:3]
	v_lshlrev_b32_e32 v41, 16, v42
	v_add_f32_e32 v43, 0xc3080000, v41
	s_mov_b32 s2, 0x7f800000
	v_and_b32_e32 v41, 0x7f800000, v43
	v_cmp_ne_u32_e32 vcc, s2, v41
                                        ; implicit-def: $vgpr41
	s_and_saveexec_b64 s[2:3], vcc
	s_xor_b64 s[2:3], exec, s[2:3]
; %bb.366:
	v_bfe_u32 v41, v43, 16, 1
	s_movk_i32 s4, 0x7fff
	v_add3_u32 v41, v43, v41, s4
                                        ; implicit-def: $vgpr43
; %bb.367:
	s_andn2_saveexec_b64 s[2:3], s[2:3]
; %bb.368:
	v_mov_b32_e32 v41, 0
	v_or_b32_e32 v44, 0x10000, v43
	v_cmp_eq_u32_sdwa vcc, v43, v41 src0_sel:WORD_0 src1_sel:DWORD
	v_cndmask_b32_e32 v41, v44, v43, vcc
; %bb.369:
	s_or_b64 exec, exec, s[2:3]
	v_and_b32_e32 v42, 0xffff0000, v42
	v_add_f32_e32 v43, 0xc3080000, v42
	s_mov_b32 s2, 0x7f800000
	v_and_b32_e32 v42, 0x7f800000, v43
	v_cmp_ne_u32_e32 vcc, s2, v42
                                        ; implicit-def: $vgpr42
	s_and_saveexec_b64 s[2:3], vcc
	s_xor_b64 s[2:3], exec, s[2:3]
; %bb.370:
	v_bfe_u32 v42, v43, 16, 1
	s_movk_i32 s4, 0x7fff
	v_add3_u32 v42, v43, v42, s4
                                        ; implicit-def: $vgpr43
; %bb.371:
	s_andn2_saveexec_b64 s[2:3], s[2:3]
; %bb.372:
	v_mov_b32_e32 v42, 0
	v_or_b32_e32 v44, 0x10000, v43
	v_cmp_eq_u32_sdwa vcc, v43, v42 src0_sel:WORD_0 src1_sel:DWORD
	v_cndmask_b32_e32 v42, v44, v43, vcc
; %bb.373:
	s_or_b64 exec, exec, s[2:3]
	v_and_b32_e32 v5, 0xffff0000, v5
	v_fma_f32 v43, v5, v29, v24
	s_mov_b32 s2, 0x7f800000
	v_and_b32_e32 v5, 0x7f800000, v43
	v_cmp_ne_u32_e32 vcc, s2, v5
                                        ; implicit-def: $vgpr5
	s_and_saveexec_b64 s[2:3], vcc
	s_xor_b64 s[2:3], exec, s[2:3]
; %bb.374:
	v_bfe_u32 v5, v43, 16, 1
	s_movk_i32 s4, 0x7fff
	v_add3_u32 v5, v43, v5, s4
                                        ; implicit-def: $vgpr43
; %bb.375:
	s_andn2_saveexec_b64 s[2:3], s[2:3]
; %bb.376:
	v_mov_b32_e32 v5, 0
	v_or_b32_e32 v44, 0x10000, v43
	v_cmp_eq_u32_sdwa vcc, v43, v5 src0_sel:WORD_0 src1_sel:DWORD
	v_cndmask_b32_e32 v5, v44, v43, vcc
; %bb.377:
	s_or_b64 exec, exec, s[2:3]
	v_and_b32_e32 v36, 0xffff0000, v36
	v_fma_f32 v43, v36, v29, v24
	s_mov_b32 s2, 0x7f800000
	v_and_b32_e32 v36, 0x7f800000, v43
	v_cmp_ne_u32_e32 vcc, s2, v36
                                        ; implicit-def: $vgpr36
	s_and_saveexec_b64 s[2:3], vcc
	s_xor_b64 s[2:3], exec, s[2:3]
; %bb.378:
	v_bfe_u32 v36, v43, 16, 1
	s_movk_i32 s4, 0x7fff
	v_add3_u32 v36, v43, v36, s4
                                        ; implicit-def: $vgpr43
; %bb.379:
	s_andn2_saveexec_b64 s[2:3], s[2:3]
; %bb.380:
	v_mov_b32_e32 v36, 0
	v_or_b32_e32 v44, 0x10000, v43
	v_cmp_eq_u32_sdwa vcc, v43, v36 src0_sel:WORD_0 src1_sel:DWORD
	v_cndmask_b32_e32 v36, v44, v43, vcc
; %bb.381:
	s_or_b64 exec, exec, s[2:3]
	v_and_b32_e32 v37, 0xffff0000, v37
	v_fma_f32 v43, v37, v29, v24
	s_mov_b32 s2, 0x7f800000
	v_and_b32_e32 v37, 0x7f800000, v43
	v_cmp_ne_u32_e32 vcc, s2, v37
                                        ; implicit-def: $vgpr37
	s_and_saveexec_b64 s[2:3], vcc
	s_xor_b64 s[2:3], exec, s[2:3]
; %bb.382:
	v_bfe_u32 v37, v43, 16, 1
	s_movk_i32 s4, 0x7fff
	v_add3_u32 v37, v43, v37, s4
                                        ; implicit-def: $vgpr43
; %bb.383:
	s_andn2_saveexec_b64 s[2:3], s[2:3]
; %bb.384:
	v_mov_b32_e32 v37, 0
	v_or_b32_e32 v44, 0x10000, v43
	v_cmp_eq_u32_sdwa vcc, v43, v37 src0_sel:WORD_0 src1_sel:DWORD
	v_cndmask_b32_e32 v37, v44, v43, vcc
; %bb.385:
	s_or_b64 exec, exec, s[2:3]
	v_and_b32_e32 v38, 0xffff0000, v38
	v_fma_f32 v43, v38, v29, v24
	s_mov_b32 s2, 0x7f800000
	v_and_b32_e32 v38, 0x7f800000, v43
	v_cmp_ne_u32_e32 vcc, s2, v38
                                        ; implicit-def: $vgpr38
	s_and_saveexec_b64 s[2:3], vcc
	s_xor_b64 s[2:3], exec, s[2:3]
; %bb.386:
	v_bfe_u32 v38, v43, 16, 1
	s_movk_i32 s4, 0x7fff
	v_add3_u32 v38, v43, v38, s4
                                        ; implicit-def: $vgpr43
; %bb.387:
	s_andn2_saveexec_b64 s[2:3], s[2:3]
; %bb.388:
	v_mov_b32_e32 v38, 0
	v_or_b32_e32 v44, 0x10000, v43
	v_cmp_eq_u32_sdwa vcc, v43, v38 src0_sel:WORD_0 src1_sel:DWORD
	v_cndmask_b32_e32 v38, v44, v43, vcc
; %bb.389:
	s_or_b64 exec, exec, s[2:3]
	v_and_b32_e32 v39, 0xffff0000, v39
	v_fma_f32 v43, v39, v29, v24
	s_mov_b32 s2, 0x7f800000
	v_and_b32_e32 v39, 0x7f800000, v43
	v_cmp_ne_u32_e32 vcc, s2, v39
                                        ; implicit-def: $vgpr39
	s_and_saveexec_b64 s[2:3], vcc
	s_xor_b64 s[2:3], exec, s[2:3]
; %bb.390:
	v_bfe_u32 v39, v43, 16, 1
	s_movk_i32 s4, 0x7fff
	v_add3_u32 v39, v43, v39, s4
                                        ; implicit-def: $vgpr43
; %bb.391:
	s_andn2_saveexec_b64 s[2:3], s[2:3]
; %bb.392:
	v_mov_b32_e32 v39, 0
	v_or_b32_e32 v44, 0x10000, v43
	v_cmp_eq_u32_sdwa vcc, v43, v39 src0_sel:WORD_0 src1_sel:DWORD
	v_cndmask_b32_e32 v39, v44, v43, vcc
; %bb.393:
	s_or_b64 exec, exec, s[2:3]
	v_and_b32_e32 v40, 0xffff0000, v40
	v_fma_f32 v43, v40, v29, v24
	s_mov_b32 s2, 0x7f800000
	v_and_b32_e32 v40, 0x7f800000, v43
	v_cmp_ne_u32_e32 vcc, s2, v40
                                        ; implicit-def: $vgpr40
	s_and_saveexec_b64 s[2:3], vcc
	s_xor_b64 s[2:3], exec, s[2:3]
; %bb.394:
	v_bfe_u32 v40, v43, 16, 1
	s_movk_i32 s4, 0x7fff
	v_add3_u32 v40, v43, v40, s4
                                        ; implicit-def: $vgpr43
; %bb.395:
	s_andn2_saveexec_b64 s[2:3], s[2:3]
; %bb.396:
	v_mov_b32_e32 v40, 0
	v_or_b32_e32 v44, 0x10000, v43
	v_cmp_eq_u32_sdwa vcc, v43, v40 src0_sel:WORD_0 src1_sel:DWORD
	v_cndmask_b32_e32 v40, v44, v43, vcc
; %bb.397:
	s_or_b64 exec, exec, s[2:3]
	v_and_b32_e32 v41, 0xffff0000, v41
	v_fma_f32 v43, v41, v29, v24
	s_mov_b32 s2, 0x7f800000
	v_and_b32_e32 v41, 0x7f800000, v43
	v_cmp_ne_u32_e32 vcc, s2, v41
                                        ; implicit-def: $vgpr41
	s_and_saveexec_b64 s[2:3], vcc
	s_xor_b64 s[2:3], exec, s[2:3]
; %bb.398:
	v_bfe_u32 v41, v43, 16, 1
	s_movk_i32 s4, 0x7fff
	v_add3_u32 v41, v43, v41, s4
                                        ; implicit-def: $vgpr43
; %bb.399:
	s_andn2_saveexec_b64 s[2:3], s[2:3]
; %bb.400:
	v_mov_b32_e32 v41, 0
	v_or_b32_e32 v44, 0x10000, v43
	v_cmp_eq_u32_sdwa vcc, v43, v41 src0_sel:WORD_0 src1_sel:DWORD
	v_cndmask_b32_e32 v41, v44, v43, vcc
; %bb.401:
	s_or_b64 exec, exec, s[2:3]
	v_and_b32_e32 v42, 0xffff0000, v42
	v_fma_f32 v43, v42, v29, v24
	s_mov_b32 s2, 0x7f800000
	v_and_b32_e32 v42, 0x7f800000, v43
	v_cmp_ne_u32_e32 vcc, s2, v42
                                        ; implicit-def: $vgpr42
	s_and_saveexec_b64 s[2:3], vcc
	s_xor_b64 s[2:3], exec, s[2:3]
; %bb.402:
	v_bfe_u32 v42, v43, 16, 1
	s_movk_i32 s4, 0x7fff
	v_add3_u32 v42, v43, v42, s4
                                        ; implicit-def: $vgpr43
; %bb.403:
	s_andn2_saveexec_b64 s[2:3], s[2:3]
; %bb.404:
	v_mov_b32_e32 v42, 0
	v_or_b32_e32 v44, 0x10000, v43
	v_cmp_eq_u32_sdwa vcc, v43, v42 src0_sel:WORD_0 src1_sel:DWORD
	v_cndmask_b32_e32 v42, v44, v43, vcc
; %bb.405:
	s_or_b64 exec, exec, s[2:3]
	v_mov_b32_e32 v44, 0xf000f
	v_mov_b32_e32 v46, 0x43004300
	;;#ASMSTART
	v_and_or_b32 v43, v6, v44, v46
	;;#ASMEND
	v_lshrrev_b32_e32 v45, 4, v6
	v_lshrrev_b32_e32 v47, 8, v6
	;; [unrolled: 1-line block ×3, first 2 shown]
	;;#ASMSTART
	v_and_or_b32 v45, v45, v44, v46
	;;#ASMEND
	;;#ASMSTART
	v_and_or_b32 v47, v47, v44, v46
	;;#ASMEND
	;;#ASMSTART
	v_and_or_b32 v49, v6, v44, v46
	;;#ASMEND
	v_lshlrev_b32_e32 v6, 16, v43
	v_add_f32_e32 v44, 0xc3080000, v6
	s_mov_b32 s2, 0x7f800000
	v_and_b32_e32 v6, 0x7f800000, v44
	v_cmp_ne_u32_e32 vcc, s2, v6
                                        ; implicit-def: $vgpr6
	s_and_saveexec_b64 s[2:3], vcc
	s_xor_b64 s[2:3], exec, s[2:3]
; %bb.406:
	v_bfe_u32 v6, v44, 16, 1
	s_movk_i32 s4, 0x7fff
	v_add3_u32 v6, v44, v6, s4
                                        ; implicit-def: $vgpr44
; %bb.407:
	s_andn2_saveexec_b64 s[2:3], s[2:3]
; %bb.408:
	v_mov_b32_e32 v6, 0
	v_or_b32_e32 v46, 0x10000, v44
	v_cmp_eq_u32_sdwa vcc, v44, v6 src0_sel:WORD_0 src1_sel:DWORD
	v_cndmask_b32_e32 v6, v46, v44, vcc
; %bb.409:
	s_or_b64 exec, exec, s[2:3]
	v_and_b32_e32 v43, 0xffff0000, v43
	v_add_f32_e32 v44, 0xc3080000, v43
	s_mov_b32 s2, 0x7f800000
	v_and_b32_e32 v43, 0x7f800000, v44
	v_cmp_ne_u32_e32 vcc, s2, v43
                                        ; implicit-def: $vgpr43
	s_and_saveexec_b64 s[2:3], vcc
	s_xor_b64 s[2:3], exec, s[2:3]
; %bb.410:
	v_bfe_u32 v43, v44, 16, 1
	s_movk_i32 s4, 0x7fff
	v_add3_u32 v43, v44, v43, s4
                                        ; implicit-def: $vgpr44
; %bb.411:
	s_andn2_saveexec_b64 s[2:3], s[2:3]
; %bb.412:
	v_mov_b32_e32 v43, 0
	v_or_b32_e32 v46, 0x10000, v44
	v_cmp_eq_u32_sdwa vcc, v44, v43 src0_sel:WORD_0 src1_sel:DWORD
	v_cndmask_b32_e32 v43, v46, v44, vcc
; %bb.413:
	s_or_b64 exec, exec, s[2:3]
	v_lshlrev_b32_e32 v44, 16, v45
	v_add_f32_e32 v46, 0xc3080000, v44
	s_mov_b32 s2, 0x7f800000
	v_and_b32_e32 v44, 0x7f800000, v46
	v_cmp_ne_u32_e32 vcc, s2, v44
                                        ; implicit-def: $vgpr44
	s_and_saveexec_b64 s[2:3], vcc
	s_xor_b64 s[2:3], exec, s[2:3]
; %bb.414:
	v_bfe_u32 v44, v46, 16, 1
	s_movk_i32 s4, 0x7fff
	v_add3_u32 v44, v46, v44, s4
                                        ; implicit-def: $vgpr46
; %bb.415:
	s_andn2_saveexec_b64 s[2:3], s[2:3]
; %bb.416:
	v_mov_b32_e32 v44, 0
	v_or_b32_e32 v48, 0x10000, v46
	v_cmp_eq_u32_sdwa vcc, v46, v44 src0_sel:WORD_0 src1_sel:DWORD
	v_cndmask_b32_e32 v44, v48, v46, vcc
; %bb.417:
	s_or_b64 exec, exec, s[2:3]
	v_and_b32_e32 v45, 0xffff0000, v45
	v_add_f32_e32 v46, 0xc3080000, v45
	s_mov_b32 s2, 0x7f800000
	v_and_b32_e32 v45, 0x7f800000, v46
	v_cmp_ne_u32_e32 vcc, s2, v45
                                        ; implicit-def: $vgpr45
	s_and_saveexec_b64 s[2:3], vcc
	s_xor_b64 s[2:3], exec, s[2:3]
; %bb.418:
	v_bfe_u32 v45, v46, 16, 1
	s_movk_i32 s4, 0x7fff
	v_add3_u32 v45, v46, v45, s4
                                        ; implicit-def: $vgpr46
; %bb.419:
	s_andn2_saveexec_b64 s[2:3], s[2:3]
; %bb.420:
	v_mov_b32_e32 v45, 0
	v_or_b32_e32 v48, 0x10000, v46
	v_cmp_eq_u32_sdwa vcc, v46, v45 src0_sel:WORD_0 src1_sel:DWORD
	v_cndmask_b32_e32 v45, v48, v46, vcc
; %bb.421:
	s_or_b64 exec, exec, s[2:3]
	v_lshlrev_b32_e32 v46, 16, v47
	v_add_f32_e32 v48, 0xc3080000, v46
	s_mov_b32 s2, 0x7f800000
	v_and_b32_e32 v46, 0x7f800000, v48
	v_cmp_ne_u32_e32 vcc, s2, v46
                                        ; implicit-def: $vgpr46
	s_and_saveexec_b64 s[2:3], vcc
	s_xor_b64 s[2:3], exec, s[2:3]
; %bb.422:
	v_bfe_u32 v46, v48, 16, 1
	s_movk_i32 s4, 0x7fff
	v_add3_u32 v46, v48, v46, s4
                                        ; implicit-def: $vgpr48
; %bb.423:
	s_andn2_saveexec_b64 s[2:3], s[2:3]
; %bb.424:
	v_mov_b32_e32 v46, 0
	v_or_b32_e32 v50, 0x10000, v48
	v_cmp_eq_u32_sdwa vcc, v48, v46 src0_sel:WORD_0 src1_sel:DWORD
	v_cndmask_b32_e32 v46, v50, v48, vcc
; %bb.425:
	s_or_b64 exec, exec, s[2:3]
	v_and_b32_e32 v47, 0xffff0000, v47
	v_add_f32_e32 v48, 0xc3080000, v47
	s_mov_b32 s2, 0x7f800000
	v_and_b32_e32 v47, 0x7f800000, v48
	v_cmp_ne_u32_e32 vcc, s2, v47
                                        ; implicit-def: $vgpr47
	s_and_saveexec_b64 s[2:3], vcc
	s_xor_b64 s[2:3], exec, s[2:3]
; %bb.426:
	v_bfe_u32 v47, v48, 16, 1
	s_movk_i32 s4, 0x7fff
	v_add3_u32 v47, v48, v47, s4
                                        ; implicit-def: $vgpr48
; %bb.427:
	s_andn2_saveexec_b64 s[2:3], s[2:3]
; %bb.428:
	v_mov_b32_e32 v47, 0
	v_or_b32_e32 v50, 0x10000, v48
	v_cmp_eq_u32_sdwa vcc, v48, v47 src0_sel:WORD_0 src1_sel:DWORD
	v_cndmask_b32_e32 v47, v50, v48, vcc
; %bb.429:
	s_or_b64 exec, exec, s[2:3]
	v_lshlrev_b32_e32 v48, 16, v49
	v_add_f32_e32 v50, 0xc3080000, v48
	s_mov_b32 s2, 0x7f800000
	v_and_b32_e32 v48, 0x7f800000, v50
	v_cmp_ne_u32_e32 vcc, s2, v48
                                        ; implicit-def: $vgpr48
	s_and_saveexec_b64 s[2:3], vcc
	s_xor_b64 s[2:3], exec, s[2:3]
; %bb.430:
	v_bfe_u32 v48, v50, 16, 1
	s_movk_i32 s4, 0x7fff
	v_add3_u32 v48, v50, v48, s4
                                        ; implicit-def: $vgpr50
; %bb.431:
	s_andn2_saveexec_b64 s[2:3], s[2:3]
; %bb.432:
	v_mov_b32_e32 v48, 0
	v_or_b32_e32 v51, 0x10000, v50
	v_cmp_eq_u32_sdwa vcc, v50, v48 src0_sel:WORD_0 src1_sel:DWORD
	v_cndmask_b32_e32 v48, v51, v50, vcc
; %bb.433:
	s_or_b64 exec, exec, s[2:3]
	v_and_b32_e32 v49, 0xffff0000, v49
	v_add_f32_e32 v50, 0xc3080000, v49
	s_mov_b32 s2, 0x7f800000
	v_and_b32_e32 v49, 0x7f800000, v50
	v_cmp_ne_u32_e32 vcc, s2, v49
                                        ; implicit-def: $vgpr49
	s_and_saveexec_b64 s[2:3], vcc
	s_xor_b64 s[2:3], exec, s[2:3]
; %bb.434:
	v_bfe_u32 v49, v50, 16, 1
	s_movk_i32 s4, 0x7fff
	v_add3_u32 v49, v50, v49, s4
                                        ; implicit-def: $vgpr50
; %bb.435:
	s_andn2_saveexec_b64 s[2:3], s[2:3]
; %bb.436:
	v_mov_b32_e32 v49, 0
	v_or_b32_e32 v51, 0x10000, v50
	v_cmp_eq_u32_sdwa vcc, v50, v49 src0_sel:WORD_0 src1_sel:DWORD
	v_cndmask_b32_e32 v49, v51, v50, vcc
; %bb.437:
	s_or_b64 exec, exec, s[2:3]
	v_and_b32_e32 v6, 0xffff0000, v6
	v_fma_f32 v50, v6, v29, v24
	s_mov_b32 s2, 0x7f800000
	v_and_b32_e32 v6, 0x7f800000, v50
	v_cmp_ne_u32_e32 vcc, s2, v6
                                        ; implicit-def: $vgpr6
	s_and_saveexec_b64 s[2:3], vcc
	s_xor_b64 s[2:3], exec, s[2:3]
; %bb.438:
	v_bfe_u32 v6, v50, 16, 1
	s_movk_i32 s4, 0x7fff
	v_add3_u32 v6, v50, v6, s4
                                        ; implicit-def: $vgpr50
; %bb.439:
	s_andn2_saveexec_b64 s[2:3], s[2:3]
; %bb.440:
	v_mov_b32_e32 v6, 0
	v_or_b32_e32 v51, 0x10000, v50
	v_cmp_eq_u32_sdwa vcc, v50, v6 src0_sel:WORD_0 src1_sel:DWORD
	v_cndmask_b32_e32 v6, v51, v50, vcc
; %bb.441:
	s_or_b64 exec, exec, s[2:3]
	v_and_b32_e32 v43, 0xffff0000, v43
	v_fma_f32 v50, v43, v29, v24
	s_mov_b32 s2, 0x7f800000
	v_and_b32_e32 v43, 0x7f800000, v50
	v_cmp_ne_u32_e32 vcc, s2, v43
                                        ; implicit-def: $vgpr43
	s_and_saveexec_b64 s[2:3], vcc
	s_xor_b64 s[2:3], exec, s[2:3]
; %bb.442:
	v_bfe_u32 v43, v50, 16, 1
	s_movk_i32 s4, 0x7fff
	v_add3_u32 v43, v50, v43, s4
                                        ; implicit-def: $vgpr50
; %bb.443:
	s_andn2_saveexec_b64 s[2:3], s[2:3]
; %bb.444:
	v_mov_b32_e32 v43, 0
	v_or_b32_e32 v51, 0x10000, v50
	v_cmp_eq_u32_sdwa vcc, v50, v43 src0_sel:WORD_0 src1_sel:DWORD
	v_cndmask_b32_e32 v43, v51, v50, vcc
; %bb.445:
	s_or_b64 exec, exec, s[2:3]
	v_and_b32_e32 v44, 0xffff0000, v44
	v_fma_f32 v50, v44, v29, v24
	s_mov_b32 s2, 0x7f800000
	v_and_b32_e32 v44, 0x7f800000, v50
	v_cmp_ne_u32_e32 vcc, s2, v44
                                        ; implicit-def: $vgpr44
	s_and_saveexec_b64 s[2:3], vcc
	s_xor_b64 s[2:3], exec, s[2:3]
; %bb.446:
	v_bfe_u32 v44, v50, 16, 1
	s_movk_i32 s4, 0x7fff
	v_add3_u32 v44, v50, v44, s4
                                        ; implicit-def: $vgpr50
; %bb.447:
	s_andn2_saveexec_b64 s[2:3], s[2:3]
; %bb.448:
	v_mov_b32_e32 v44, 0
	v_or_b32_e32 v51, 0x10000, v50
	v_cmp_eq_u32_sdwa vcc, v50, v44 src0_sel:WORD_0 src1_sel:DWORD
	v_cndmask_b32_e32 v44, v51, v50, vcc
; %bb.449:
	s_or_b64 exec, exec, s[2:3]
	v_and_b32_e32 v45, 0xffff0000, v45
	v_fma_f32 v50, v45, v29, v24
	s_mov_b32 s2, 0x7f800000
	v_and_b32_e32 v45, 0x7f800000, v50
	v_cmp_ne_u32_e32 vcc, s2, v45
                                        ; implicit-def: $vgpr45
	s_and_saveexec_b64 s[2:3], vcc
	s_xor_b64 s[2:3], exec, s[2:3]
; %bb.450:
	v_bfe_u32 v45, v50, 16, 1
	s_movk_i32 s4, 0x7fff
	v_add3_u32 v45, v50, v45, s4
                                        ; implicit-def: $vgpr50
; %bb.451:
	s_andn2_saveexec_b64 s[2:3], s[2:3]
; %bb.452:
	v_mov_b32_e32 v45, 0
	v_or_b32_e32 v51, 0x10000, v50
	v_cmp_eq_u32_sdwa vcc, v50, v45 src0_sel:WORD_0 src1_sel:DWORD
	v_cndmask_b32_e32 v45, v51, v50, vcc
; %bb.453:
	s_or_b64 exec, exec, s[2:3]
	v_and_b32_e32 v46, 0xffff0000, v46
	v_fma_f32 v50, v46, v29, v24
	s_mov_b32 s2, 0x7f800000
	v_and_b32_e32 v46, 0x7f800000, v50
	v_cmp_ne_u32_e32 vcc, s2, v46
                                        ; implicit-def: $vgpr46
	s_and_saveexec_b64 s[2:3], vcc
	s_xor_b64 s[2:3], exec, s[2:3]
; %bb.454:
	v_bfe_u32 v46, v50, 16, 1
	s_movk_i32 s4, 0x7fff
	v_add3_u32 v46, v50, v46, s4
                                        ; implicit-def: $vgpr50
; %bb.455:
	s_andn2_saveexec_b64 s[2:3], s[2:3]
; %bb.456:
	v_mov_b32_e32 v46, 0
	v_or_b32_e32 v51, 0x10000, v50
	v_cmp_eq_u32_sdwa vcc, v50, v46 src0_sel:WORD_0 src1_sel:DWORD
	v_cndmask_b32_e32 v46, v51, v50, vcc
; %bb.457:
	s_or_b64 exec, exec, s[2:3]
	v_and_b32_e32 v47, 0xffff0000, v47
	v_fma_f32 v50, v47, v29, v24
	s_mov_b32 s2, 0x7f800000
	v_and_b32_e32 v47, 0x7f800000, v50
	v_cmp_ne_u32_e32 vcc, s2, v47
                                        ; implicit-def: $vgpr47
	s_and_saveexec_b64 s[2:3], vcc
	s_xor_b64 s[2:3], exec, s[2:3]
; %bb.458:
	v_bfe_u32 v47, v50, 16, 1
	s_movk_i32 s4, 0x7fff
	v_add3_u32 v47, v50, v47, s4
                                        ; implicit-def: $vgpr50
; %bb.459:
	s_andn2_saveexec_b64 s[2:3], s[2:3]
; %bb.460:
	v_mov_b32_e32 v47, 0
	v_or_b32_e32 v51, 0x10000, v50
	v_cmp_eq_u32_sdwa vcc, v50, v47 src0_sel:WORD_0 src1_sel:DWORD
	v_cndmask_b32_e32 v47, v51, v50, vcc
; %bb.461:
	s_or_b64 exec, exec, s[2:3]
	v_and_b32_e32 v48, 0xffff0000, v48
	v_fma_f32 v50, v48, v29, v24
	s_mov_b32 s2, 0x7f800000
	v_and_b32_e32 v48, 0x7f800000, v50
	v_cmp_ne_u32_e32 vcc, s2, v48
                                        ; implicit-def: $vgpr48
	s_and_saveexec_b64 s[2:3], vcc
	s_xor_b64 s[2:3], exec, s[2:3]
; %bb.462:
	v_bfe_u32 v48, v50, 16, 1
	s_movk_i32 s4, 0x7fff
	v_add3_u32 v48, v50, v48, s4
                                        ; implicit-def: $vgpr50
; %bb.463:
	s_andn2_saveexec_b64 s[2:3], s[2:3]
; %bb.464:
	v_mov_b32_e32 v48, 0
	v_or_b32_e32 v51, 0x10000, v50
	v_cmp_eq_u32_sdwa vcc, v50, v48 src0_sel:WORD_0 src1_sel:DWORD
	v_cndmask_b32_e32 v48, v51, v50, vcc
; %bb.465:
	s_or_b64 exec, exec, s[2:3]
	v_and_b32_e32 v49, 0xffff0000, v49
	v_fma_f32 v50, v49, v29, v24
	s_mov_b32 s2, 0x7f800000
	v_and_b32_e32 v49, 0x7f800000, v50
	v_cmp_ne_u32_e32 vcc, s2, v49
                                        ; implicit-def: $vgpr49
	s_and_saveexec_b64 s[2:3], vcc
	s_xor_b64 s[2:3], exec, s[2:3]
; %bb.466:
	v_bfe_u32 v49, v50, 16, 1
	s_movk_i32 s4, 0x7fff
	v_add3_u32 v49, v50, v49, s4
                                        ; implicit-def: $vgpr50
; %bb.467:
	s_andn2_saveexec_b64 s[2:3], s[2:3]
; %bb.468:
	v_mov_b32_e32 v49, 0
	v_or_b32_e32 v51, 0x10000, v50
	v_cmp_eq_u32_sdwa vcc, v50, v49 src0_sel:WORD_0 src1_sel:DWORD
	v_cndmask_b32_e32 v49, v51, v50, vcc
; %bb.469:
	s_or_b64 exec, exec, s[2:3]
	v_mov_b32_e32 v51, 0xf000f
	v_mov_b32_e32 v53, 0x43004300
	;;#ASMSTART
	v_and_or_b32 v50, v7, v51, v53
	;;#ASMEND
	v_lshrrev_b32_e32 v52, 4, v7
	v_lshrrev_b32_e32 v54, 8, v7
	;; [unrolled: 1-line block ×3, first 2 shown]
	;;#ASMSTART
	v_and_or_b32 v52, v52, v51, v53
	;;#ASMEND
	;;#ASMSTART
	v_and_or_b32 v54, v54, v51, v53
	;;#ASMEND
	;; [unrolled: 3-line block ×3, first 2 shown]
	v_lshlrev_b32_e32 v7, 16, v50
	v_add_f32_e32 v51, 0xc3080000, v7
	s_mov_b32 s2, 0x7f800000
	v_and_b32_e32 v7, 0x7f800000, v51
	v_cmp_ne_u32_e32 vcc, s2, v7
                                        ; implicit-def: $vgpr7
	s_and_saveexec_b64 s[2:3], vcc
	s_xor_b64 s[2:3], exec, s[2:3]
; %bb.470:
	v_bfe_u32 v7, v51, 16, 1
	s_movk_i32 s4, 0x7fff
	v_add3_u32 v7, v51, v7, s4
                                        ; implicit-def: $vgpr51
; %bb.471:
	s_andn2_saveexec_b64 s[2:3], s[2:3]
; %bb.472:
	v_mov_b32_e32 v7, 0
	v_or_b32_e32 v53, 0x10000, v51
	v_cmp_eq_u32_sdwa vcc, v51, v7 src0_sel:WORD_0 src1_sel:DWORD
	v_cndmask_b32_e32 v7, v53, v51, vcc
; %bb.473:
	s_or_b64 exec, exec, s[2:3]
	v_and_b32_e32 v50, 0xffff0000, v50
	v_add_f32_e32 v51, 0xc3080000, v50
	s_mov_b32 s2, 0x7f800000
	v_and_b32_e32 v50, 0x7f800000, v51
	v_cmp_ne_u32_e32 vcc, s2, v50
                                        ; implicit-def: $vgpr50
	s_and_saveexec_b64 s[2:3], vcc
	s_xor_b64 s[2:3], exec, s[2:3]
; %bb.474:
	v_bfe_u32 v50, v51, 16, 1
	s_movk_i32 s4, 0x7fff
	v_add3_u32 v50, v51, v50, s4
                                        ; implicit-def: $vgpr51
; %bb.475:
	s_andn2_saveexec_b64 s[2:3], s[2:3]
; %bb.476:
	v_mov_b32_e32 v50, 0
	v_or_b32_e32 v53, 0x10000, v51
	v_cmp_eq_u32_sdwa vcc, v51, v50 src0_sel:WORD_0 src1_sel:DWORD
	v_cndmask_b32_e32 v50, v53, v51, vcc
; %bb.477:
	s_or_b64 exec, exec, s[2:3]
	v_lshlrev_b32_e32 v51, 16, v52
	v_add_f32_e32 v53, 0xc3080000, v51
	s_mov_b32 s2, 0x7f800000
	v_and_b32_e32 v51, 0x7f800000, v53
	v_cmp_ne_u32_e32 vcc, s2, v51
                                        ; implicit-def: $vgpr51
	s_and_saveexec_b64 s[2:3], vcc
	s_xor_b64 s[2:3], exec, s[2:3]
; %bb.478:
	v_bfe_u32 v51, v53, 16, 1
	s_movk_i32 s4, 0x7fff
	v_add3_u32 v51, v53, v51, s4
                                        ; implicit-def: $vgpr53
; %bb.479:
	s_andn2_saveexec_b64 s[2:3], s[2:3]
; %bb.480:
	v_mov_b32_e32 v51, 0
	v_or_b32_e32 v55, 0x10000, v53
	v_cmp_eq_u32_sdwa vcc, v53, v51 src0_sel:WORD_0 src1_sel:DWORD
	v_cndmask_b32_e32 v51, v55, v53, vcc
; %bb.481:
	s_or_b64 exec, exec, s[2:3]
	v_and_b32_e32 v52, 0xffff0000, v52
	v_add_f32_e32 v53, 0xc3080000, v52
	s_mov_b32 s2, 0x7f800000
	v_and_b32_e32 v52, 0x7f800000, v53
	v_cmp_ne_u32_e32 vcc, s2, v52
                                        ; implicit-def: $vgpr52
	s_and_saveexec_b64 s[2:3], vcc
	s_xor_b64 s[2:3], exec, s[2:3]
; %bb.482:
	v_bfe_u32 v52, v53, 16, 1
	s_movk_i32 s4, 0x7fff
	v_add3_u32 v52, v53, v52, s4
                                        ; implicit-def: $vgpr53
; %bb.483:
	s_andn2_saveexec_b64 s[2:3], s[2:3]
; %bb.484:
	v_mov_b32_e32 v52, 0
	v_or_b32_e32 v55, 0x10000, v53
	v_cmp_eq_u32_sdwa vcc, v53, v52 src0_sel:WORD_0 src1_sel:DWORD
	v_cndmask_b32_e32 v52, v55, v53, vcc
; %bb.485:
	s_or_b64 exec, exec, s[2:3]
	v_lshlrev_b32_e32 v53, 16, v54
	v_add_f32_e32 v55, 0xc3080000, v53
	s_mov_b32 s2, 0x7f800000
	v_and_b32_e32 v53, 0x7f800000, v55
	v_cmp_ne_u32_e32 vcc, s2, v53
                                        ; implicit-def: $vgpr53
	s_and_saveexec_b64 s[2:3], vcc
	s_xor_b64 s[2:3], exec, s[2:3]
; %bb.486:
	v_bfe_u32 v53, v55, 16, 1
	s_movk_i32 s4, 0x7fff
	v_add3_u32 v53, v55, v53, s4
                                        ; implicit-def: $vgpr55
; %bb.487:
	s_andn2_saveexec_b64 s[2:3], s[2:3]
; %bb.488:
	v_mov_b32_e32 v53, 0
	v_or_b32_e32 v57, 0x10000, v55
	v_cmp_eq_u32_sdwa vcc, v55, v53 src0_sel:WORD_0 src1_sel:DWORD
	v_cndmask_b32_e32 v53, v57, v55, vcc
; %bb.489:
	s_or_b64 exec, exec, s[2:3]
	v_and_b32_e32 v54, 0xffff0000, v54
	v_add_f32_e32 v55, 0xc3080000, v54
	s_mov_b32 s2, 0x7f800000
	v_and_b32_e32 v54, 0x7f800000, v55
	v_cmp_ne_u32_e32 vcc, s2, v54
                                        ; implicit-def: $vgpr54
	s_and_saveexec_b64 s[2:3], vcc
	s_xor_b64 s[2:3], exec, s[2:3]
; %bb.490:
	v_bfe_u32 v54, v55, 16, 1
	s_movk_i32 s4, 0x7fff
	v_add3_u32 v54, v55, v54, s4
                                        ; implicit-def: $vgpr55
; %bb.491:
	s_andn2_saveexec_b64 s[2:3], s[2:3]
; %bb.492:
	v_mov_b32_e32 v54, 0
	v_or_b32_e32 v57, 0x10000, v55
	v_cmp_eq_u32_sdwa vcc, v55, v54 src0_sel:WORD_0 src1_sel:DWORD
	v_cndmask_b32_e32 v54, v57, v55, vcc
; %bb.493:
	s_or_b64 exec, exec, s[2:3]
	v_lshlrev_b32_e32 v55, 16, v56
	v_add_f32_e32 v57, 0xc3080000, v55
	s_mov_b32 s2, 0x7f800000
	v_and_b32_e32 v55, 0x7f800000, v57
	v_cmp_ne_u32_e32 vcc, s2, v55
                                        ; implicit-def: $vgpr55
	s_and_saveexec_b64 s[2:3], vcc
	s_xor_b64 s[2:3], exec, s[2:3]
; %bb.494:
	v_bfe_u32 v55, v57, 16, 1
	s_movk_i32 s4, 0x7fff
	v_add3_u32 v55, v57, v55, s4
                                        ; implicit-def: $vgpr57
; %bb.495:
	s_andn2_saveexec_b64 s[2:3], s[2:3]
; %bb.496:
	v_mov_b32_e32 v55, 0
	v_or_b32_e32 v58, 0x10000, v57
	v_cmp_eq_u32_sdwa vcc, v57, v55 src0_sel:WORD_0 src1_sel:DWORD
	v_cndmask_b32_e32 v55, v58, v57, vcc
; %bb.497:
	s_or_b64 exec, exec, s[2:3]
	v_and_b32_e32 v56, 0xffff0000, v56
	v_add_f32_e32 v57, 0xc3080000, v56
	s_mov_b32 s2, 0x7f800000
	v_and_b32_e32 v56, 0x7f800000, v57
	v_cmp_ne_u32_e32 vcc, s2, v56
                                        ; implicit-def: $vgpr56
	s_and_saveexec_b64 s[2:3], vcc
	s_xor_b64 s[2:3], exec, s[2:3]
; %bb.498:
	v_bfe_u32 v56, v57, 16, 1
	s_movk_i32 s4, 0x7fff
	v_add3_u32 v56, v57, v56, s4
                                        ; implicit-def: $vgpr57
; %bb.499:
	s_andn2_saveexec_b64 s[2:3], s[2:3]
; %bb.500:
	v_mov_b32_e32 v56, 0
	v_or_b32_e32 v58, 0x10000, v57
	v_cmp_eq_u32_sdwa vcc, v57, v56 src0_sel:WORD_0 src1_sel:DWORD
	v_cndmask_b32_e32 v56, v58, v57, vcc
; %bb.501:
	s_or_b64 exec, exec, s[2:3]
	v_and_b32_e32 v7, 0xffff0000, v7
	v_fma_f32 v57, v7, v29, v24
	s_mov_b32 s2, 0x7f800000
	v_and_b32_e32 v7, 0x7f800000, v57
	v_cmp_ne_u32_e32 vcc, s2, v7
                                        ; implicit-def: $vgpr7
	s_and_saveexec_b64 s[2:3], vcc
	s_xor_b64 s[2:3], exec, s[2:3]
; %bb.502:
	v_bfe_u32 v7, v57, 16, 1
	s_movk_i32 s4, 0x7fff
	v_add3_u32 v7, v57, v7, s4
                                        ; implicit-def: $vgpr57
; %bb.503:
	s_andn2_saveexec_b64 s[2:3], s[2:3]
; %bb.504:
	v_mov_b32_e32 v7, 0
	v_or_b32_e32 v58, 0x10000, v57
	v_cmp_eq_u32_sdwa vcc, v57, v7 src0_sel:WORD_0 src1_sel:DWORD
	v_cndmask_b32_e32 v7, v58, v57, vcc
; %bb.505:
	s_or_b64 exec, exec, s[2:3]
	v_and_b32_e32 v50, 0xffff0000, v50
	v_fma_f32 v57, v50, v29, v24
	s_mov_b32 s2, 0x7f800000
	v_and_b32_e32 v50, 0x7f800000, v57
	v_cmp_ne_u32_e32 vcc, s2, v50
                                        ; implicit-def: $vgpr50
	s_and_saveexec_b64 s[2:3], vcc
	s_xor_b64 s[2:3], exec, s[2:3]
; %bb.506:
	v_bfe_u32 v50, v57, 16, 1
	s_movk_i32 s4, 0x7fff
	v_add3_u32 v50, v57, v50, s4
                                        ; implicit-def: $vgpr57
; %bb.507:
	s_andn2_saveexec_b64 s[2:3], s[2:3]
; %bb.508:
	v_mov_b32_e32 v50, 0
	v_or_b32_e32 v58, 0x10000, v57
	v_cmp_eq_u32_sdwa vcc, v57, v50 src0_sel:WORD_0 src1_sel:DWORD
	v_cndmask_b32_e32 v50, v58, v57, vcc
; %bb.509:
	s_or_b64 exec, exec, s[2:3]
	v_and_b32_e32 v51, 0xffff0000, v51
	v_fma_f32 v57, v51, v29, v24
	s_mov_b32 s2, 0x7f800000
	v_and_b32_e32 v51, 0x7f800000, v57
	v_cmp_ne_u32_e32 vcc, s2, v51
                                        ; implicit-def: $vgpr51
	s_and_saveexec_b64 s[2:3], vcc
	s_xor_b64 s[2:3], exec, s[2:3]
; %bb.510:
	v_bfe_u32 v51, v57, 16, 1
	s_movk_i32 s4, 0x7fff
	v_add3_u32 v51, v57, v51, s4
                                        ; implicit-def: $vgpr57
; %bb.511:
	s_andn2_saveexec_b64 s[2:3], s[2:3]
; %bb.512:
	v_mov_b32_e32 v51, 0
	v_or_b32_e32 v58, 0x10000, v57
	v_cmp_eq_u32_sdwa vcc, v57, v51 src0_sel:WORD_0 src1_sel:DWORD
	v_cndmask_b32_e32 v51, v58, v57, vcc
; %bb.513:
	s_or_b64 exec, exec, s[2:3]
	v_and_b32_e32 v52, 0xffff0000, v52
	v_fma_f32 v57, v52, v29, v24
	s_mov_b32 s2, 0x7f800000
	v_and_b32_e32 v52, 0x7f800000, v57
	v_cmp_ne_u32_e32 vcc, s2, v52
                                        ; implicit-def: $vgpr52
	s_and_saveexec_b64 s[2:3], vcc
	s_xor_b64 s[2:3], exec, s[2:3]
; %bb.514:
	v_bfe_u32 v52, v57, 16, 1
	s_movk_i32 s4, 0x7fff
	v_add3_u32 v52, v57, v52, s4
                                        ; implicit-def: $vgpr57
; %bb.515:
	s_andn2_saveexec_b64 s[2:3], s[2:3]
; %bb.516:
	v_mov_b32_e32 v52, 0
	v_or_b32_e32 v58, 0x10000, v57
	v_cmp_eq_u32_sdwa vcc, v57, v52 src0_sel:WORD_0 src1_sel:DWORD
	v_cndmask_b32_e32 v52, v58, v57, vcc
; %bb.517:
	s_or_b64 exec, exec, s[2:3]
	v_and_b32_e32 v53, 0xffff0000, v53
	v_fma_f32 v57, v53, v29, v24
	s_mov_b32 s2, 0x7f800000
	v_and_b32_e32 v53, 0x7f800000, v57
	v_cmp_ne_u32_e32 vcc, s2, v53
                                        ; implicit-def: $vgpr53
	s_and_saveexec_b64 s[2:3], vcc
	s_xor_b64 s[2:3], exec, s[2:3]
; %bb.518:
	v_bfe_u32 v53, v57, 16, 1
	s_movk_i32 s4, 0x7fff
	v_add3_u32 v53, v57, v53, s4
                                        ; implicit-def: $vgpr57
; %bb.519:
	s_andn2_saveexec_b64 s[2:3], s[2:3]
; %bb.520:
	v_mov_b32_e32 v53, 0
	v_or_b32_e32 v58, 0x10000, v57
	v_cmp_eq_u32_sdwa vcc, v57, v53 src0_sel:WORD_0 src1_sel:DWORD
	v_cndmask_b32_e32 v53, v58, v57, vcc
; %bb.521:
	s_or_b64 exec, exec, s[2:3]
	v_and_b32_e32 v54, 0xffff0000, v54
	v_fma_f32 v57, v54, v29, v24
	s_mov_b32 s2, 0x7f800000
	v_and_b32_e32 v54, 0x7f800000, v57
	v_cmp_ne_u32_e32 vcc, s2, v54
                                        ; implicit-def: $vgpr54
	s_and_saveexec_b64 s[2:3], vcc
	s_xor_b64 s[2:3], exec, s[2:3]
; %bb.522:
	v_bfe_u32 v54, v57, 16, 1
	s_movk_i32 s4, 0x7fff
	v_add3_u32 v54, v57, v54, s4
                                        ; implicit-def: $vgpr57
; %bb.523:
	s_andn2_saveexec_b64 s[2:3], s[2:3]
; %bb.524:
	v_mov_b32_e32 v54, 0
	v_or_b32_e32 v58, 0x10000, v57
	v_cmp_eq_u32_sdwa vcc, v57, v54 src0_sel:WORD_0 src1_sel:DWORD
	v_cndmask_b32_e32 v54, v58, v57, vcc
; %bb.525:
	s_or_b64 exec, exec, s[2:3]
	v_and_b32_e32 v55, 0xffff0000, v55
	v_fma_f32 v57, v55, v29, v24
	s_mov_b32 s2, 0x7f800000
	v_and_b32_e32 v55, 0x7f800000, v57
	v_cmp_ne_u32_e32 vcc, s2, v55
                                        ; implicit-def: $vgpr55
	s_and_saveexec_b64 s[2:3], vcc
	s_xor_b64 s[2:3], exec, s[2:3]
; %bb.526:
	v_bfe_u32 v55, v57, 16, 1
	s_movk_i32 s4, 0x7fff
	v_add3_u32 v55, v57, v55, s4
                                        ; implicit-def: $vgpr57
; %bb.527:
	s_andn2_saveexec_b64 s[2:3], s[2:3]
; %bb.528:
	v_mov_b32_e32 v55, 0
	v_or_b32_e32 v58, 0x10000, v57
	v_cmp_eq_u32_sdwa vcc, v57, v55 src0_sel:WORD_0 src1_sel:DWORD
	v_cndmask_b32_e32 v55, v58, v57, vcc
; %bb.529:
	s_or_b64 exec, exec, s[2:3]
	v_and_b32_e32 v56, 0xffff0000, v56
	v_fmac_f32_e32 v24, v56, v29
	s_mov_b32 s2, 0x7f800000
	v_and_b32_e32 v29, 0x7f800000, v24
	v_cmp_ne_u32_e32 vcc, s2, v29
                                        ; implicit-def: $vgpr29
	s_and_saveexec_b64 s[2:3], vcc
	s_xor_b64 s[2:3], exec, s[2:3]
; %bb.530:
	v_bfe_u32 v29, v24, 16, 1
	s_movk_i32 s4, 0x7fff
	v_add3_u32 v29, v24, v29, s4
                                        ; implicit-def: $vgpr24
; %bb.531:
	s_andn2_saveexec_b64 s[2:3], s[2:3]
; %bb.532:
	v_mov_b32_e32 v29, 0
	v_or_b32_e32 v56, 0x10000, v24
	v_cmp_eq_u32_sdwa vcc, v24, v29 src0_sel:WORD_0 src1_sel:DWORD
	v_cndmask_b32_e32 v29, v56, v24, vcc
; %bb.533:
	s_or_b64 exec, exec, s[2:3]
	s_mov_b32 s2, 0x3020706
	v_perm_b32 v31, v30, v31, s2
	v_perm_b32 v30, v4, v25, s2
	;; [unrolled: 1-line block ×4, first 2 shown]
	v_mfma_f32_16x16x16bf16_1k v[56:59], v[14:15], v[30:31], 0
	v_perm_b32 v15, v34, v35, s2
	v_perm_b32 v14, v32, v33, s2
	;; [unrolled: 1-line block ×4, first 2 shown]
	v_mfma_f32_16x16x16bf16_1k v[12:15], v[12:13], v[14:15], 0
	s_nop 5
	v_pk_add_f32 v[2:3], v[2:3], v[58:59]
	v_pk_add_f32 v[0:1], v[0:1], v[56:57]
	v_mfma_f32_16x16x16bf16_1k v[30:33], v[8:9], v[24:25], 0
	s_nop 1
	v_pk_add_f32 v[2:3], v[2:3], v[14:15]
	v_perm_b32 v9, v51, v52, s2
	v_perm_b32 v8, v7, v50, s2
	v_pk_add_f32 v[0:1], v[0:1], v[12:13]
	v_mfma_f32_16x16x16bf16_1k v[34:37], v[18:19], v[4:5], 0
	v_perm_b32 v5, v44, v45, s2
	v_perm_b32 v4, v6, v43, s2
	s_nop 1
	v_pk_add_f32 v[2:3], v[2:3], v[32:33]
	v_pk_add_f32 v[12:13], v[0:1], v[30:31]
	v_perm_b32 v19, v55, v29, s2
	v_perm_b32 v18, v53, v54, s2
	s_nop 2
	v_pk_add_f32 v[14:15], v[2:3], v[36:37]
	v_mfma_f32_16x16x16bf16_1k v[22:25], v[22:23], v[4:5], 0
	v_perm_b32 v5, v48, v49, s2
	v_perm_b32 v4, v46, v47, s2
	s_nop 1
	v_mfma_f32_16x16x16bf16_1k v[4:7], v[20:21], v[4:5], 0
	v_mfma_f32_16x16x16bf16_1k v[0:3], v[10:11], v[8:9], 0
	v_pk_add_f32 v[8:9], v[12:13], v[34:35]
	s_nop 3
	v_pk_add_f32 v[10:11], v[14:15], v[24:25]
	v_pk_add_f32 v[8:9], v[8:9], v[22:23]
	s_nop 2
	v_pk_add_f32 v[6:7], v[10:11], v[6:7]
	v_pk_add_f32 v[4:5], v[8:9], v[4:5]
	;; [unrolled: 1-line block ×4, first 2 shown]
	v_mfma_f32_16x16x16bf16_1k v[0:3], v[16:17], v[18:19], 0
	s_nop 7
	s_nop 2
	v_pk_add_f32 v[2:3], v[6:7], v[2:3]
	v_pk_add_f32 v[0:1], v[4:5], v[0:1]
.LBB11_534:
	s_or_b64 exec, exec, s[0:1]
	v_lshlrev_b32_e32 v29, 4, v26
	v_lshl_add_u32 v4, v28, 10, v29
	v_cmp_eq_u32_e32 vcc, 0, v28
	ds_write_b128 v4, v[0:3]
	s_waitcnt lgkmcnt(0)
	s_barrier
	s_and_saveexec_b64 s[0:1], vcc
	s_cbranch_execz .LBB11_559
; %bb.535:
	v_add_u32_e32 v0, 12, v29
	v_add_u32_e32 v1, 0x404, v29
	;; [unrolled: 1-line block ×4, first 2 shown]
	ds_read2st64_b32 v[2:3], v0 offset1:4
	ds_read2st64_b32 v[4:5], v0 offset0:8 offset1:12
	ds_read2_b32 v[10:11], v29 offset0:1 offset1:2
	ds_read2_b32 v[12:13], v1 offset1:1
	ds_read2_b32 v[14:15], v6 offset1:1
	;; [unrolled: 1-line block ×3, first 2 shown]
	v_add_u32_e32 v1, 0x1004, v29
	ds_read2st64_b32 v[6:7], v0 offset0:16 offset1:20
	v_add_u32_e32 v20, 0x1404, v29
	v_add_u32_e32 v22, 0x1804, v29
	ds_read2st64_b32 v[8:9], v0 offset0:24 offset1:28
	v_add_u32_e32 v0, 0x1c04, v29
	ds_read2_b32 v[18:19], v1 offset1:1
	ds_read2_b32 v[20:21], v20 offset1:1
	;; [unrolled: 1-line block ×4, first 2 shown]
	v_and_b32_e32 v0, 0xfc, v27
	v_lshl_add_u32 v27, s8, 4, v0
	v_mul_lo_u32 v30, v27, s17
	v_ashrrev_i32_e32 v31, 31, v30
	s_lshl_b32 s0, s7, 4
	v_lshlrev_b64 v[30:31], 1, v[30:31]
	v_and_or_b32 v0, v26, 15, s0
	v_mov_b32_e32 v1, s15
	v_add_co_u32_e32 v26, vcc, s14, v30
	v_addc_co_u32_e32 v28, vcc, v1, v31, vcc
	v_ashrrev_i32_e32 v1, 31, v0
	v_lshlrev_b64 v[0:1], 1, v[0:1]
	v_add_co_u32_e32 v0, vcc, v26, v0
	v_addc_co_u32_e32 v1, vcc, v28, v1, vcc
	v_cmp_gt_i32_e32 vcc, s16, v27
	s_and_saveexec_b64 s[0:1], vcc
	s_cbranch_execz .LBB11_541
; %bb.536:
	ds_read2st64_b32 v[30:31], v29 offset1:4
	ds_read2st64_b32 v[32:33], v29 offset0:8 offset1:12
	ds_read2st64_b32 v[34:35], v29 offset0:16 offset1:20
	;; [unrolled: 1-line block ×3, first 2 shown]
	s_mov_b32 s2, 0x7f800000
	s_waitcnt lgkmcnt(3)
	v_add_f32_e32 v26, 0, v30
	v_add_f32_e32 v26, v26, v31
	s_waitcnt lgkmcnt(2)
	v_add_f32_e32 v26, v26, v32
	v_add_f32_e32 v26, v26, v33
	;; [unrolled: 3-line block ×4, first 2 shown]
	v_and_b32_e32 v28, 0x7f800000, v26
	v_cmp_ne_u32_e32 vcc, s2, v28
                                        ; implicit-def: $vgpr28
	s_and_saveexec_b64 s[2:3], vcc
	s_xor_b64 s[2:3], exec, s[2:3]
; %bb.537:
	v_bfe_u32 v28, v26, 16, 1
	s_movk_i32 s4, 0x7fff
	v_add3_u32 v28, v26, v28, s4
                                        ; implicit-def: $vgpr26
; %bb.538:
	s_andn2_saveexec_b64 s[2:3], s[2:3]
; %bb.539:
	v_mov_b32_e32 v28, 0
	v_or_b32_e32 v29, 0x10000, v26
	v_cmp_eq_u32_sdwa vcc, v26, v28 src0_sel:WORD_0 src1_sel:DWORD
	v_cndmask_b32_e32 v28, v29, v26, vcc
; %bb.540:
	s_or_b64 exec, exec, s[2:3]
	global_store_short_d16_hi v[0:1], v28, off
.LBB11_541:
	s_or_b64 exec, exec, s[0:1]
	v_or_b32_e32 v26, 1, v27
	v_cmp_gt_i32_e32 vcc, s16, v26
	s_and_saveexec_b64 s[0:1], vcc
	s_cbranch_execz .LBB11_547
; %bb.542:
	s_waitcnt lgkmcnt(9)
	v_add_f32_e32 v10, 0, v10
	s_waitcnt lgkmcnt(8)
	v_add_f32_e32 v10, v10, v12
	s_waitcnt lgkmcnt(7)
	v_add_f32_e32 v10, v10, v14
	s_waitcnt lgkmcnt(6)
	v_add_f32_e32 v10, v10, v16
	s_waitcnt lgkmcnt(3)
	v_add_f32_e32 v10, v10, v18
	s_waitcnt lgkmcnt(2)
	v_add_f32_e32 v10, v10, v20
	s_waitcnt lgkmcnt(1)
	v_add_f32_e32 v10, v10, v22
	s_waitcnt lgkmcnt(0)
	v_add_f32_e32 v12, v10, v24
	s_mov_b32 s2, 0x7f800000
	v_and_b32_e32 v10, 0x7f800000, v12
	v_cmp_ne_u32_e32 vcc, s2, v10
                                        ; implicit-def: $vgpr10
	s_and_saveexec_b64 s[2:3], vcc
	s_xor_b64 s[2:3], exec, s[2:3]
; %bb.543:
	v_bfe_u32 v10, v12, 16, 1
	s_movk_i32 s4, 0x7fff
	v_add3_u32 v10, v12, v10, s4
                                        ; implicit-def: $vgpr12
; %bb.544:
	s_andn2_saveexec_b64 s[2:3], s[2:3]
; %bb.545:
	v_mov_b32_e32 v10, 0
	v_or_b32_e32 v14, 0x10000, v12
	v_cmp_eq_u32_sdwa vcc, v12, v10 src0_sel:WORD_0 src1_sel:DWORD
	v_cndmask_b32_e32 v10, v14, v12, vcc
; %bb.546:
	s_or_b64 exec, exec, s[2:3]
	s_ashr_i32 s3, s17, 31
	s_mov_b32 s2, s17
	s_lshl_b64 s[2:3], s[2:3], 1
	v_mov_b32_e32 v12, s3
	v_add_co_u32_e32 v28, vcc, s2, v0
	v_addc_co_u32_e32 v29, vcc, v1, v12, vcc
	global_store_short_d16_hi v[28:29], v10, off
.LBB11_547:
	s_or_b64 exec, exec, s[0:1]
	s_waitcnt lgkmcnt(9)
	v_or_b32_e32 v10, 2, v27
	v_cmp_gt_i32_e32 vcc, s16, v10
	s_and_saveexec_b64 s[0:1], vcc
	s_cbranch_execz .LBB11_553
; %bb.548:
	v_add_f32_e32 v10, 0, v11
	s_waitcnt lgkmcnt(8)
	v_add_f32_e32 v10, v10, v13
	s_waitcnt lgkmcnt(7)
	v_add_f32_e32 v10, v10, v15
	s_waitcnt lgkmcnt(6)
	v_add_f32_e32 v10, v10, v17
	s_waitcnt lgkmcnt(3)
	v_add_f32_e32 v10, v10, v19
	s_waitcnt lgkmcnt(2)
	v_add_f32_e32 v10, v10, v21
	s_waitcnt lgkmcnt(1)
	v_add_f32_e32 v10, v10, v23
	s_waitcnt lgkmcnt(0)
	v_add_f32_e32 v11, v10, v25
	s_mov_b32 s2, 0x7f800000
	v_and_b32_e32 v10, 0x7f800000, v11
	v_cmp_ne_u32_e32 vcc, s2, v10
                                        ; implicit-def: $vgpr10
	s_and_saveexec_b64 s[2:3], vcc
	s_xor_b64 s[2:3], exec, s[2:3]
; %bb.549:
	v_bfe_u32 v10, v11, 16, 1
	s_movk_i32 s4, 0x7fff
	v_add3_u32 v10, v11, v10, s4
                                        ; implicit-def: $vgpr11
; %bb.550:
	s_andn2_saveexec_b64 s[2:3], s[2:3]
; %bb.551:
	v_mov_b32_e32 v10, 0
	v_or_b32_e32 v12, 0x10000, v11
	v_cmp_eq_u32_sdwa vcc, v11, v10 src0_sel:WORD_0 src1_sel:DWORD
	v_cndmask_b32_e32 v10, v12, v11, vcc
; %bb.552:
	s_or_b64 exec, exec, s[2:3]
	s_lshl_b32 s2, s17, 1
	s_ashr_i32 s3, s2, 31
	s_lshl_b64 s[2:3], s[2:3], 1
	v_mov_b32_e32 v11, s3
	v_add_co_u32_e32 v12, vcc, s2, v0
	v_addc_co_u32_e32 v13, vcc, v1, v11, vcc
	global_store_short_d16_hi v[12:13], v10, off
.LBB11_553:
	s_or_b64 exec, exec, s[0:1]
	v_or_b32_e32 v10, 3, v27
	v_cmp_gt_i32_e32 vcc, s16, v10
	s_and_b64 exec, exec, vcc
	s_cbranch_execz .LBB11_559
; %bb.554:
	v_add_f32_e32 v2, 0, v2
	v_add_f32_e32 v2, v2, v3
	;; [unrolled: 1-line block ×4, first 2 shown]
	s_waitcnt lgkmcnt(5)
	v_add_f32_e32 v2, v2, v6
	v_add_f32_e32 v2, v2, v7
	s_waitcnt lgkmcnt(4)
	v_add_f32_e32 v2, v2, v8
	v_add_f32_e32 v3, v2, v9
	s_mov_b32 s0, 0x7f800000
	v_and_b32_e32 v2, 0x7f800000, v3
	v_cmp_ne_u32_e32 vcc, s0, v2
                                        ; implicit-def: $vgpr2
	s_and_saveexec_b64 s[0:1], vcc
	s_xor_b64 s[0:1], exec, s[0:1]
; %bb.555:
	v_bfe_u32 v2, v3, 16, 1
	s_movk_i32 s2, 0x7fff
	v_add3_u32 v2, v3, v2, s2
                                        ; implicit-def: $vgpr3
; %bb.556:
	s_andn2_saveexec_b64 s[0:1], s[0:1]
; %bb.557:
	v_mov_b32_e32 v2, 0
	v_or_b32_e32 v4, 0x10000, v3
	v_cmp_eq_u32_sdwa vcc, v3, v2 src0_sel:WORD_0 src1_sel:DWORD
	v_cndmask_b32_e32 v2, v4, v3, vcc
; %bb.558:
	s_or_b64 exec, exec, s[0:1]
	s_mul_i32 s0, s17, 3
	s_ashr_i32 s1, s0, 31
	s_lshl_b64 s[0:1], s[0:1], 1
	v_mov_b32_e32 v3, s1
	v_add_co_u32_e32 v0, vcc, s0, v0
	v_addc_co_u32_e32 v1, vcc, v1, v3, vcc
	global_store_short_d16_hi v[0:1], v2, off
.LBB11_559:
	s_endpgm
	.section	.rodata,"a",@progbits
	.p2align	6, 0x0
	.amdhsa_kernel _ZN2at6native30tinygemm_m16n8k16_chunk_kernelINS0_10ALayout_RMILNS0_14KReductionTypeE0EEENS0_15BLayout_TC_int4ILi8ELi256EEES4_Li8ELi8EEEvPKvS8_S8_Pviiiiii
		.amdhsa_group_segment_fixed_size 8192
		.amdhsa_private_segment_fixed_size 0
		.amdhsa_kernarg_size 56
		.amdhsa_user_sgpr_count 6
		.amdhsa_user_sgpr_private_segment_buffer 1
		.amdhsa_user_sgpr_dispatch_ptr 0
		.amdhsa_user_sgpr_queue_ptr 0
		.amdhsa_user_sgpr_kernarg_segment_ptr 1
		.amdhsa_user_sgpr_dispatch_id 0
		.amdhsa_user_sgpr_flat_scratch_init 0
		.amdhsa_user_sgpr_kernarg_preload_length 0
		.amdhsa_user_sgpr_kernarg_preload_offset 0
		.amdhsa_user_sgpr_private_segment_size 0
		.amdhsa_uses_dynamic_stack 0
		.amdhsa_system_sgpr_private_segment_wavefront_offset 0
		.amdhsa_system_sgpr_workgroup_id_x 1
		.amdhsa_system_sgpr_workgroup_id_y 1
		.amdhsa_system_sgpr_workgroup_id_z 1
		.amdhsa_system_sgpr_workgroup_info 0
		.amdhsa_system_vgpr_workitem_id 1
		.amdhsa_next_free_vgpr 72
		.amdhsa_next_free_sgpr 29
		.amdhsa_accum_offset 72
		.amdhsa_reserve_vcc 1
		.amdhsa_reserve_flat_scratch 0
		.amdhsa_float_round_mode_32 0
		.amdhsa_float_round_mode_16_64 0
		.amdhsa_float_denorm_mode_32 3
		.amdhsa_float_denorm_mode_16_64 3
		.amdhsa_dx10_clamp 1
		.amdhsa_ieee_mode 1
		.amdhsa_fp16_overflow 0
		.amdhsa_tg_split 0
		.amdhsa_exception_fp_ieee_invalid_op 0
		.amdhsa_exception_fp_denorm_src 0
		.amdhsa_exception_fp_ieee_div_zero 0
		.amdhsa_exception_fp_ieee_overflow 0
		.amdhsa_exception_fp_ieee_underflow 0
		.amdhsa_exception_fp_ieee_inexact 0
		.amdhsa_exception_int_div_zero 0
	.end_amdhsa_kernel
	.section	.text._ZN2at6native30tinygemm_m16n8k16_chunk_kernelINS0_10ALayout_RMILNS0_14KReductionTypeE0EEENS0_15BLayout_TC_int4ILi8ELi256EEES4_Li8ELi8EEEvPKvS8_S8_Pviiiiii,"axG",@progbits,_ZN2at6native30tinygemm_m16n8k16_chunk_kernelINS0_10ALayout_RMILNS0_14KReductionTypeE0EEENS0_15BLayout_TC_int4ILi8ELi256EEES4_Li8ELi8EEEvPKvS8_S8_Pviiiiii,comdat
.Lfunc_end11:
	.size	_ZN2at6native30tinygemm_m16n8k16_chunk_kernelINS0_10ALayout_RMILNS0_14KReductionTypeE0EEENS0_15BLayout_TC_int4ILi8ELi256EEES4_Li8ELi8EEEvPKvS8_S8_Pviiiiii, .Lfunc_end11-_ZN2at6native30tinygemm_m16n8k16_chunk_kernelINS0_10ALayout_RMILNS0_14KReductionTypeE0EEENS0_15BLayout_TC_int4ILi8ELi256EEES4_Li8ELi8EEEvPKvS8_S8_Pviiiiii
                                        ; -- End function
	.section	.AMDGPU.csdata,"",@progbits
; Kernel info:
; codeLenInByte = 14896
; NumSgprs: 33
; NumVgprs: 72
; NumAgprs: 0
; TotalNumVgprs: 72
; ScratchSize: 0
; MemoryBound: 0
; FloatMode: 240
; IeeeMode: 1
; LDSByteSize: 8192 bytes/workgroup (compile time only)
; SGPRBlocks: 4
; VGPRBlocks: 8
; NumSGPRsForWavesPerEU: 33
; NumVGPRsForWavesPerEU: 72
; AccumOffset: 72
; Occupancy: 7
; WaveLimiterHint : 0
; COMPUTE_PGM_RSRC2:SCRATCH_EN: 0
; COMPUTE_PGM_RSRC2:USER_SGPR: 6
; COMPUTE_PGM_RSRC2:TRAP_HANDLER: 0
; COMPUTE_PGM_RSRC2:TGID_X_EN: 1
; COMPUTE_PGM_RSRC2:TGID_Y_EN: 1
; COMPUTE_PGM_RSRC2:TGID_Z_EN: 1
; COMPUTE_PGM_RSRC2:TIDIG_COMP_CNT: 1
; COMPUTE_PGM_RSRC3_GFX90A:ACCUM_OFFSET: 17
; COMPUTE_PGM_RSRC3_GFX90A:TG_SPLIT: 0
	.section	.text._ZN2at6native31matrix_to_m16n8k16_Bint4_layoutILi2EEEvN5torch10headeronly6detail27GenericPackedTensorAccessorINS4_14TensorAccessorIN3c108ArrayRefIlEEhLm1ENS3_17RestrictPtrTraitsEiEENS_6detail16IndexBoundsCheckILm2EiEEhLm2ESA_iEENS5_INS6_IS9_iLm3ESA_iEENSD_ILm4EiEEiLm4ESA_iEE,"axG",@progbits,_ZN2at6native31matrix_to_m16n8k16_Bint4_layoutILi2EEEvN5torch10headeronly6detail27GenericPackedTensorAccessorINS4_14TensorAccessorIN3c108ArrayRefIlEEhLm1ENS3_17RestrictPtrTraitsEiEENS_6detail16IndexBoundsCheckILm2EiEEhLm2ESA_iEENS5_INS6_IS9_iLm3ESA_iEENSD_ILm4EiEEiLm4ESA_iEE,comdat
	.protected	_ZN2at6native31matrix_to_m16n8k16_Bint4_layoutILi2EEEvN5torch10headeronly6detail27GenericPackedTensorAccessorINS4_14TensorAccessorIN3c108ArrayRefIlEEhLm1ENS3_17RestrictPtrTraitsEiEENS_6detail16IndexBoundsCheckILm2EiEEhLm2ESA_iEENS5_INS6_IS9_iLm3ESA_iEENSD_ILm4EiEEiLm4ESA_iEE ; -- Begin function _ZN2at6native31matrix_to_m16n8k16_Bint4_layoutILi2EEEvN5torch10headeronly6detail27GenericPackedTensorAccessorINS4_14TensorAccessorIN3c108ArrayRefIlEEhLm1ENS3_17RestrictPtrTraitsEiEENS_6detail16IndexBoundsCheckILm2EiEEhLm2ESA_iEENS5_INS6_IS9_iLm3ESA_iEENSD_ILm4EiEEiLm4ESA_iEE
	.globl	_ZN2at6native31matrix_to_m16n8k16_Bint4_layoutILi2EEEvN5torch10headeronly6detail27GenericPackedTensorAccessorINS4_14TensorAccessorIN3c108ArrayRefIlEEhLm1ENS3_17RestrictPtrTraitsEiEENS_6detail16IndexBoundsCheckILm2EiEEhLm2ESA_iEENS5_INS6_IS9_iLm3ESA_iEENSD_ILm4EiEEiLm4ESA_iEE
	.p2align	8
	.type	_ZN2at6native31matrix_to_m16n8k16_Bint4_layoutILi2EEEvN5torch10headeronly6detail27GenericPackedTensorAccessorINS4_14TensorAccessorIN3c108ArrayRefIlEEhLm1ENS3_17RestrictPtrTraitsEiEENS_6detail16IndexBoundsCheckILm2EiEEhLm2ESA_iEENS5_INS6_IS9_iLm3ESA_iEENSD_ILm4EiEEiLm4ESA_iEE,@function
_ZN2at6native31matrix_to_m16n8k16_Bint4_layoutILi2EEEvN5torch10headeronly6detail27GenericPackedTensorAccessorINS4_14TensorAccessorIN3c108ArrayRefIlEEhLm1ENS3_17RestrictPtrTraitsEiEENS_6detail16IndexBoundsCheckILm2EiEEhLm2ESA_iEENS5_INS6_IS9_iLm3ESA_iEENSD_ILm4EiEEiLm4ESA_iEE: ; @_ZN2at6native31matrix_to_m16n8k16_Bint4_layoutILi2EEEvN5torch10headeronly6detail27GenericPackedTensorAccessorINS4_14TensorAccessorIN3c108ArrayRefIlEEhLm1ENS3_17RestrictPtrTraitsEiEENS_6detail16IndexBoundsCheckILm2EiEEhLm2ESA_iEENS5_INS6_IS9_iLm3ESA_iEENSD_ILm4EiEEiLm4ESA_iEE
; %bb.0:
	s_load_dwordx4 s[8:11], s[4:5], 0x8
	s_load_dwordx2 s[0:1], s[4:5], 0x0
	v_and_b32_e32 v1, 15, v0
	v_lshl_or_b32 v1, s7, 4, v1
	s_lshl_b32 s2, s6, 4
	v_lshrrev_b32_e32 v2, 3, v0
	s_waitcnt lgkmcnt(0)
	v_cmp_gt_u32_e32 vcc, s8, v1
	s_and_b32 s2, s2, 0x7ffffff0
	v_and_b32_e32 v2, 0x7e, v2
	v_mul_lo_u32 v1, s10, v1
	v_add_u32_e32 v5, s2, v2
	v_ashrrev_i32_e32 v2, 31, v1
	v_mov_b32_e32 v4, s1
	v_add_co_u32_e64 v3, s[0:1], s0, v1
	v_addc_co_u32_e64 v4, s[0:1], v4, v2, s[0:1]
	v_cmp_gt_i32_e64 s[0:1], s9, v5
	s_and_b64 s[0:1], vcc, s[0:1]
	v_mov_b32_e32 v1, 0
	v_ashrrev_i32_e32 v6, 31, v5
	v_mov_b32_e32 v2, 0
	s_and_saveexec_b64 s[2:3], s[0:1]
	s_cbranch_execz .LBB12_2
; %bb.1:
	v_add_co_u32_e64 v8, s[0:1], v3, v5
	v_addc_co_u32_e64 v9, s[0:1], v4, v6, s[0:1]
	global_load_ubyte v2, v[8:9], off
.LBB12_2:
	s_or_b64 exec, exec, s[2:3]
	v_or_b32_e32 v7, 1, v5
	v_cmp_gt_i32_e64 s[0:1], s9, v7
	s_and_b64 s[0:1], vcc, s[0:1]
	s_and_saveexec_b64 s[2:3], s[0:1]
	s_cbranch_execz .LBB12_4
; %bb.3:
	v_add_co_u32_e64 v8, s[0:1], v3, v5
	v_addc_co_u32_e64 v9, s[0:1], v4, v6, s[0:1]
	global_load_ubyte v1, v[8:9], off offset:1
.LBB12_4:
	s_or_b64 exec, exec, s[2:3]
	s_load_dwordx2 s[2:3], s[4:5], 0x18
	v_add_u32_e32 v7, 8, v5
	v_cmp_gt_i32_e64 s[0:1], s9, v7
	s_and_b64 s[0:1], vcc, s[0:1]
	v_mov_b32_e32 v6, 0
	v_ashrrev_i32_e32 v8, 31, v7
	v_mov_b32_e32 v5, 0
	s_and_saveexec_b64 s[10:11], s[0:1]
	s_cbranch_execz .LBB12_6
; %bb.5:
	v_add_co_u32_e64 v10, s[0:1], v3, v7
	v_addc_co_u32_e64 v11, s[0:1], v4, v8, s[0:1]
	global_load_ubyte v5, v[10:11], off
.LBB12_6:
	s_or_b64 exec, exec, s[10:11]
	s_load_dword s4, s[4:5], 0x24
	v_or_b32_e32 v9, 1, v7
	v_cmp_gt_i32_e64 s[0:1], s9, v9
	s_and_b64 s[8:9], vcc, s[0:1]
	s_and_saveexec_b64 s[0:1], s[8:9]
	s_cbranch_execz .LBB12_8
; %bb.7:
	v_add_co_u32_e32 v6, vcc, v3, v7
	v_addc_co_u32_e32 v7, vcc, v4, v8, vcc
	global_load_ubyte v6, v[6:7], off offset:1
.LBB12_8:
	s_or_b64 exec, exec, s[0:1]
	s_waitcnt vmcnt(0)
	v_lshlrev_b32_e32 v3, 28, v6
	v_lshlrev_b32_e32 v4, 24, v5
	s_mov_b32 s0, 0xf000000
	v_and_or_b32 v3, v4, s0, v3
	v_lshlrev_b32_e32 v4, 20, v1
	v_lshlrev_b32_e32 v7, 16, v2
	v_and_b32_e32 v4, 0xf00000, v4
	v_and_b32_e32 v7, 0xf0000, v7
	v_or3_b32 v3, v3, v4, v7
	v_lshlrev_b32_e32 v4, 8, v6
	v_lshlrev_b32_e32 v5, 4, v5
	v_and_b32_e32 v4, 0xf000, v4
	v_and_b32_e32 v5, 0xf00, v5
	s_waitcnt lgkmcnt(0)
	s_mul_i32 s0, s4, s7
	v_or3_b32 v3, v3, v4, v5
	v_and_b32_e32 v1, 0xf0, v1
	v_lshrrev_b32_e32 v2, 4, v2
	s_add_i32 s0, s0, s6
	v_or3_b32 v2, v3, v1, v2
	v_lshl_add_u32 v0, s0, 6, v0
	v_mov_b32_e32 v1, 0
	v_lshlrev_b64 v[0:1], 2, v[0:1]
	v_mov_b32_e32 v3, s3
	v_add_co_u32_e32 v0, vcc, s2, v0
	v_addc_co_u32_e32 v1, vcc, v3, v1, vcc
	global_store_dword v[0:1], v2, off
	s_endpgm
	.section	.rodata,"a",@progbits
	.p2align	6, 0x0
	.amdhsa_kernel _ZN2at6native31matrix_to_m16n8k16_Bint4_layoutILi2EEEvN5torch10headeronly6detail27GenericPackedTensorAccessorINS4_14TensorAccessorIN3c108ArrayRefIlEEhLm1ENS3_17RestrictPtrTraitsEiEENS_6detail16IndexBoundsCheckILm2EiEEhLm2ESA_iEENS5_INS6_IS9_iLm3ESA_iEENSD_ILm4EiEEiLm4ESA_iEE
		.amdhsa_group_segment_fixed_size 0
		.amdhsa_private_segment_fixed_size 0
		.amdhsa_kernarg_size 64
		.amdhsa_user_sgpr_count 6
		.amdhsa_user_sgpr_private_segment_buffer 1
		.amdhsa_user_sgpr_dispatch_ptr 0
		.amdhsa_user_sgpr_queue_ptr 0
		.amdhsa_user_sgpr_kernarg_segment_ptr 1
		.amdhsa_user_sgpr_dispatch_id 0
		.amdhsa_user_sgpr_flat_scratch_init 0
		.amdhsa_user_sgpr_kernarg_preload_length 0
		.amdhsa_user_sgpr_kernarg_preload_offset 0
		.amdhsa_user_sgpr_private_segment_size 0
		.amdhsa_uses_dynamic_stack 0
		.amdhsa_system_sgpr_private_segment_wavefront_offset 0
		.amdhsa_system_sgpr_workgroup_id_x 1
		.amdhsa_system_sgpr_workgroup_id_y 1
		.amdhsa_system_sgpr_workgroup_id_z 0
		.amdhsa_system_sgpr_workgroup_info 0
		.amdhsa_system_vgpr_workitem_id 0
		.amdhsa_next_free_vgpr 12
		.amdhsa_next_free_sgpr 12
		.amdhsa_accum_offset 12
		.amdhsa_reserve_vcc 1
		.amdhsa_reserve_flat_scratch 0
		.amdhsa_float_round_mode_32 0
		.amdhsa_float_round_mode_16_64 0
		.amdhsa_float_denorm_mode_32 3
		.amdhsa_float_denorm_mode_16_64 3
		.amdhsa_dx10_clamp 1
		.amdhsa_ieee_mode 1
		.amdhsa_fp16_overflow 0
		.amdhsa_tg_split 0
		.amdhsa_exception_fp_ieee_invalid_op 0
		.amdhsa_exception_fp_denorm_src 0
		.amdhsa_exception_fp_ieee_div_zero 0
		.amdhsa_exception_fp_ieee_overflow 0
		.amdhsa_exception_fp_ieee_underflow 0
		.amdhsa_exception_fp_ieee_inexact 0
		.amdhsa_exception_int_div_zero 0
	.end_amdhsa_kernel
	.section	.text._ZN2at6native31matrix_to_m16n8k16_Bint4_layoutILi2EEEvN5torch10headeronly6detail27GenericPackedTensorAccessorINS4_14TensorAccessorIN3c108ArrayRefIlEEhLm1ENS3_17RestrictPtrTraitsEiEENS_6detail16IndexBoundsCheckILm2EiEEhLm2ESA_iEENS5_INS6_IS9_iLm3ESA_iEENSD_ILm4EiEEiLm4ESA_iEE,"axG",@progbits,_ZN2at6native31matrix_to_m16n8k16_Bint4_layoutILi2EEEvN5torch10headeronly6detail27GenericPackedTensorAccessorINS4_14TensorAccessorIN3c108ArrayRefIlEEhLm1ENS3_17RestrictPtrTraitsEiEENS_6detail16IndexBoundsCheckILm2EiEEhLm2ESA_iEENS5_INS6_IS9_iLm3ESA_iEENSD_ILm4EiEEiLm4ESA_iEE,comdat
.Lfunc_end12:
	.size	_ZN2at6native31matrix_to_m16n8k16_Bint4_layoutILi2EEEvN5torch10headeronly6detail27GenericPackedTensorAccessorINS4_14TensorAccessorIN3c108ArrayRefIlEEhLm1ENS3_17RestrictPtrTraitsEiEENS_6detail16IndexBoundsCheckILm2EiEEhLm2ESA_iEENS5_INS6_IS9_iLm3ESA_iEENSD_ILm4EiEEiLm4ESA_iEE, .Lfunc_end12-_ZN2at6native31matrix_to_m16n8k16_Bint4_layoutILi2EEEvN5torch10headeronly6detail27GenericPackedTensorAccessorINS4_14TensorAccessorIN3c108ArrayRefIlEEhLm1ENS3_17RestrictPtrTraitsEiEENS_6detail16IndexBoundsCheckILm2EiEEhLm2ESA_iEENS5_INS6_IS9_iLm3ESA_iEENSD_ILm4EiEEiLm4ESA_iEE
                                        ; -- End function
	.section	.AMDGPU.csdata,"",@progbits
; Kernel info:
; codeLenInByte = 500
; NumSgprs: 16
; NumVgprs: 12
; NumAgprs: 0
; TotalNumVgprs: 12
; ScratchSize: 0
; MemoryBound: 0
; FloatMode: 240
; IeeeMode: 1
; LDSByteSize: 0 bytes/workgroup (compile time only)
; SGPRBlocks: 1
; VGPRBlocks: 1
; NumSGPRsForWavesPerEU: 16
; NumVGPRsForWavesPerEU: 12
; AccumOffset: 12
; Occupancy: 8
; WaveLimiterHint : 0
; COMPUTE_PGM_RSRC2:SCRATCH_EN: 0
; COMPUTE_PGM_RSRC2:USER_SGPR: 6
; COMPUTE_PGM_RSRC2:TRAP_HANDLER: 0
; COMPUTE_PGM_RSRC2:TGID_X_EN: 1
; COMPUTE_PGM_RSRC2:TGID_Y_EN: 1
; COMPUTE_PGM_RSRC2:TGID_Z_EN: 0
; COMPUTE_PGM_RSRC2:TIDIG_COMP_CNT: 0
; COMPUTE_PGM_RSRC3_GFX90A:ACCUM_OFFSET: 2
; COMPUTE_PGM_RSRC3_GFX90A:TG_SPLIT: 0
	.section	.text._ZN2at6native31matrix_to_m16n8k16_Bint4_layoutILi4EEEvN5torch10headeronly6detail27GenericPackedTensorAccessorINS4_14TensorAccessorIN3c108ArrayRefIlEEhLm1ENS3_17RestrictPtrTraitsEiEENS_6detail16IndexBoundsCheckILm2EiEEhLm2ESA_iEENS5_INS6_IS9_iLm3ESA_iEENSD_ILm4EiEEiLm4ESA_iEE,"axG",@progbits,_ZN2at6native31matrix_to_m16n8k16_Bint4_layoutILi4EEEvN5torch10headeronly6detail27GenericPackedTensorAccessorINS4_14TensorAccessorIN3c108ArrayRefIlEEhLm1ENS3_17RestrictPtrTraitsEiEENS_6detail16IndexBoundsCheckILm2EiEEhLm2ESA_iEENS5_INS6_IS9_iLm3ESA_iEENSD_ILm4EiEEiLm4ESA_iEE,comdat
	.protected	_ZN2at6native31matrix_to_m16n8k16_Bint4_layoutILi4EEEvN5torch10headeronly6detail27GenericPackedTensorAccessorINS4_14TensorAccessorIN3c108ArrayRefIlEEhLm1ENS3_17RestrictPtrTraitsEiEENS_6detail16IndexBoundsCheckILm2EiEEhLm2ESA_iEENS5_INS6_IS9_iLm3ESA_iEENSD_ILm4EiEEiLm4ESA_iEE ; -- Begin function _ZN2at6native31matrix_to_m16n8k16_Bint4_layoutILi4EEEvN5torch10headeronly6detail27GenericPackedTensorAccessorINS4_14TensorAccessorIN3c108ArrayRefIlEEhLm1ENS3_17RestrictPtrTraitsEiEENS_6detail16IndexBoundsCheckILm2EiEEhLm2ESA_iEENS5_INS6_IS9_iLm3ESA_iEENSD_ILm4EiEEiLm4ESA_iEE
	.globl	_ZN2at6native31matrix_to_m16n8k16_Bint4_layoutILi4EEEvN5torch10headeronly6detail27GenericPackedTensorAccessorINS4_14TensorAccessorIN3c108ArrayRefIlEEhLm1ENS3_17RestrictPtrTraitsEiEENS_6detail16IndexBoundsCheckILm2EiEEhLm2ESA_iEENS5_INS6_IS9_iLm3ESA_iEENSD_ILm4EiEEiLm4ESA_iEE
	.p2align	8
	.type	_ZN2at6native31matrix_to_m16n8k16_Bint4_layoutILi4EEEvN5torch10headeronly6detail27GenericPackedTensorAccessorINS4_14TensorAccessorIN3c108ArrayRefIlEEhLm1ENS3_17RestrictPtrTraitsEiEENS_6detail16IndexBoundsCheckILm2EiEEhLm2ESA_iEENS5_INS6_IS9_iLm3ESA_iEENSD_ILm4EiEEiLm4ESA_iEE,@function
_ZN2at6native31matrix_to_m16n8k16_Bint4_layoutILi4EEEvN5torch10headeronly6detail27GenericPackedTensorAccessorINS4_14TensorAccessorIN3c108ArrayRefIlEEhLm1ENS3_17RestrictPtrTraitsEiEENS_6detail16IndexBoundsCheckILm2EiEEhLm2ESA_iEENS5_INS6_IS9_iLm3ESA_iEENSD_ILm4EiEEiLm4ESA_iEE: ; @_ZN2at6native31matrix_to_m16n8k16_Bint4_layoutILi4EEEvN5torch10headeronly6detail27GenericPackedTensorAccessorINS4_14TensorAccessorIN3c108ArrayRefIlEEhLm1ENS3_17RestrictPtrTraitsEiEENS_6detail16IndexBoundsCheckILm2EiEEhLm2ESA_iEENS5_INS6_IS9_iLm3ESA_iEENSD_ILm4EiEEiLm4ESA_iEE
; %bb.0:
	s_load_dwordx4 s[8:11], s[4:5], 0x8
	s_load_dwordx2 s[0:1], s[4:5], 0x0
	v_and_b32_e32 v1, 15, v0
	v_lshl_or_b32 v1, s7, 4, v1
	v_lshrrev_b32_e32 v2, 3, v0
	s_waitcnt lgkmcnt(0)
	v_cmp_gt_u32_e32 vcc, s8, v1
	v_mul_lo_u32 v1, s10, v1
	v_ashrrev_i32_e32 v3, 31, v1
	v_mov_b32_e32 v5, s1
	v_add_co_u32_e64 v4, s[0:1], s0, v1
	v_addc_co_u32_e64 v5, s[0:1], v5, v3, s[0:1]
	s_lshl_b32 s0, s6, 5
	v_and_b32_e32 v2, 0x7e, v2
	s_and_b32 s0, s0, 0x7fffffe0
	v_add_u32_e32 v6, s0, v2
	v_cmp_gt_i32_e64 s[0:1], s9, v6
	s_and_b64 s[0:1], vcc, s[0:1]
	v_mov_b32_e32 v1, 0
	v_ashrrev_i32_e32 v3, 31, v6
	v_mov_b32_e32 v2, 0
	s_and_saveexec_b64 s[2:3], s[0:1]
	s_cbranch_execz .LBB13_2
; %bb.1:
	v_add_co_u32_e64 v8, s[0:1], v4, v6
	v_addc_co_u32_e64 v9, s[0:1], v5, v3, s[0:1]
	global_load_ubyte v2, v[8:9], off
.LBB13_2:
	s_or_b64 exec, exec, s[2:3]
	v_or_b32_e32 v7, 1, v6
	v_cmp_gt_i32_e64 s[0:1], s9, v7
	s_and_b64 s[0:1], vcc, s[0:1]
	s_and_saveexec_b64 s[2:3], s[0:1]
	s_cbranch_execz .LBB13_4
; %bb.3:
	v_add_co_u32_e64 v8, s[0:1], v4, v6
	v_addc_co_u32_e64 v9, s[0:1], v5, v3, s[0:1]
	global_load_ubyte v1, v[8:9], off offset:1
.LBB13_4:
	s_or_b64 exec, exec, s[2:3]
	s_load_dwordx2 s[2:3], s[4:5], 0x18
	v_add_u32_e32 v8, 8, v6
	v_cmp_gt_i32_e64 s[0:1], s9, v8
	s_and_b64 s[0:1], vcc, s[0:1]
	v_mov_b32_e32 v7, 0
	v_ashrrev_i32_e32 v9, 31, v8
	v_mov_b32_e32 v3, 0
	s_and_saveexec_b64 s[10:11], s[0:1]
	s_cbranch_execz .LBB13_6
; %bb.5:
	v_add_co_u32_e64 v10, s[0:1], v4, v8
	v_addc_co_u32_e64 v11, s[0:1], v5, v9, s[0:1]
	global_load_ubyte v3, v[10:11], off
.LBB13_6:
	s_or_b64 exec, exec, s[10:11]
	s_load_dword s8, s[4:5], 0x24
	v_or_b32_e32 v10, 1, v8
	v_cmp_gt_i32_e64 s[0:1], s9, v10
	s_and_b64 s[0:1], vcc, s[0:1]
	s_and_saveexec_b64 s[4:5], s[0:1]
	s_cbranch_execz .LBB13_8
; %bb.7:
	v_add_co_u32_e64 v8, s[0:1], v4, v8
	v_addc_co_u32_e64 v9, s[0:1], v5, v9, s[0:1]
	global_load_ubyte v7, v[8:9], off offset:1
.LBB13_8:
	s_or_b64 exec, exec, s[4:5]
	s_waitcnt lgkmcnt(0)
	s_mul_i32 s0, s8, s7
	s_add_i32 s0, s0, s6
	v_lshlrev_b32_e32 v0, 1, v0
	v_lshl_add_u32 v0, s0, 7, v0
	s_waitcnt vmcnt(0)
	v_lshlrev_b32_e32 v8, 28, v7
	v_lshlrev_b32_e32 v9, 24, v3
	s_mov_b32 s0, 0xf000000
	v_and_or_b32 v8, v9, s0, v8
	v_lshlrev_b32_e32 v9, 20, v1
	v_lshlrev_b32_e32 v10, 16, v2
	v_and_b32_e32 v9, 0xf00000, v9
	v_and_b32_e32 v10, 0xf0000, v10
	v_lshlrev_b32_e32 v7, 8, v7
	v_lshlrev_b32_e32 v3, 4, v3
	v_or3_b32 v8, v8, v9, v10
	v_and_b32_e32 v7, 0xf000, v7
	v_and_b32_e32 v3, 0xf00, v3
	v_or3_b32 v3, v8, v7, v3
	v_and_b32_e32 v1, 0xf0, v1
	v_lshrrev_b32_e32 v2, 4, v2
	v_or3_b32 v7, v3, v1, v2
	v_mov_b32_e32 v1, 0
	v_lshlrev_b64 v[2:3], 2, v[0:1]
	v_mov_b32_e32 v0, s3
	v_add_co_u32_e64 v2, s[0:1], s2, v2
	v_addc_co_u32_e64 v3, s[0:1], v0, v3, s[0:1]
	global_store_dword v[2:3], v7, off
	v_add_u32_e32 v7, 16, v6
	v_cmp_gt_i32_e64 s[0:1], s9, v7
	s_and_b64 s[0:1], vcc, s[0:1]
	v_ashrrev_i32_e32 v8, 31, v7
	v_mov_b32_e32 v0, 0
	s_and_saveexec_b64 s[2:3], s[0:1]
	s_cbranch_execz .LBB13_10
; %bb.9:
	v_add_co_u32_e64 v10, s[0:1], v4, v7
	v_addc_co_u32_e64 v11, s[0:1], v5, v8, s[0:1]
	global_load_ubyte v0, v[10:11], off
.LBB13_10:
	s_or_b64 exec, exec, s[2:3]
	v_or_b32_e32 v9, 1, v7
	v_cmp_gt_i32_e64 s[0:1], s9, v9
	s_and_b64 s[0:1], vcc, s[0:1]
	s_and_saveexec_b64 s[2:3], s[0:1]
	s_cbranch_execz .LBB13_12
; %bb.11:
	v_add_co_u32_e64 v10, s[0:1], v4, v7
	v_addc_co_u32_e64 v11, s[0:1], v5, v8, s[0:1]
	global_load_ubyte v1, v[10:11], off offset:1
.LBB13_12:
	s_or_b64 exec, exec, s[2:3]
	v_add_u32_e32 v8, 24, v6
	v_cmp_gt_i32_e64 s[0:1], s9, v8
	s_and_b64 s[0:1], vcc, s[0:1]
	v_mov_b32_e32 v7, 0
	v_ashrrev_i32_e32 v9, 31, v8
	v_mov_b32_e32 v6, 0
	s_and_saveexec_b64 s[2:3], s[0:1]
	s_cbranch_execz .LBB13_14
; %bb.13:
	v_add_co_u32_e64 v10, s[0:1], v4, v8
	v_addc_co_u32_e64 v11, s[0:1], v5, v9, s[0:1]
	global_load_ubyte v6, v[10:11], off
.LBB13_14:
	s_or_b64 exec, exec, s[2:3]
	v_or_b32_e32 v10, 1, v8
	v_cmp_gt_i32_e64 s[0:1], s9, v10
	s_and_b64 s[2:3], vcc, s[0:1]
	s_and_saveexec_b64 s[0:1], s[2:3]
	s_cbranch_execz .LBB13_16
; %bb.15:
	v_add_co_u32_e32 v4, vcc, v4, v8
	v_addc_co_u32_e32 v5, vcc, v5, v9, vcc
	global_load_ubyte v7, v[4:5], off offset:1
.LBB13_16:
	s_or_b64 exec, exec, s[0:1]
	s_waitcnt vmcnt(0)
	v_lshlrev_b32_e32 v4, 28, v7
	v_lshlrev_b32_e32 v5, 24, v6
	s_mov_b32 s0, 0xf000000
	v_and_or_b32 v4, v5, s0, v4
	v_lshlrev_b32_e32 v5, 20, v1
	v_lshlrev_b32_e32 v8, 16, v0
	v_and_b32_e32 v5, 0xf00000, v5
	v_and_b32_e32 v8, 0xf0000, v8
	v_or3_b32 v4, v4, v5, v8
	v_lshlrev_b32_e32 v5, 8, v7
	v_lshlrev_b32_e32 v6, 4, v6
	v_and_b32_e32 v5, 0xf000, v5
	v_and_b32_e32 v6, 0xf00, v6
	v_or3_b32 v4, v4, v5, v6
	v_and_b32_e32 v1, 0xf0, v1
	v_lshrrev_b32_e32 v0, 4, v0
	v_or3_b32 v0, v4, v1, v0
	global_store_dword v[2:3], v0, off offset:4
	s_endpgm
	.section	.rodata,"a",@progbits
	.p2align	6, 0x0
	.amdhsa_kernel _ZN2at6native31matrix_to_m16n8k16_Bint4_layoutILi4EEEvN5torch10headeronly6detail27GenericPackedTensorAccessorINS4_14TensorAccessorIN3c108ArrayRefIlEEhLm1ENS3_17RestrictPtrTraitsEiEENS_6detail16IndexBoundsCheckILm2EiEEhLm2ESA_iEENS5_INS6_IS9_iLm3ESA_iEENSD_ILm4EiEEiLm4ESA_iEE
		.amdhsa_group_segment_fixed_size 0
		.amdhsa_private_segment_fixed_size 0
		.amdhsa_kernarg_size 64
		.amdhsa_user_sgpr_count 6
		.amdhsa_user_sgpr_private_segment_buffer 1
		.amdhsa_user_sgpr_dispatch_ptr 0
		.amdhsa_user_sgpr_queue_ptr 0
		.amdhsa_user_sgpr_kernarg_segment_ptr 1
		.amdhsa_user_sgpr_dispatch_id 0
		.amdhsa_user_sgpr_flat_scratch_init 0
		.amdhsa_user_sgpr_kernarg_preload_length 0
		.amdhsa_user_sgpr_kernarg_preload_offset 0
		.amdhsa_user_sgpr_private_segment_size 0
		.amdhsa_uses_dynamic_stack 0
		.amdhsa_system_sgpr_private_segment_wavefront_offset 0
		.amdhsa_system_sgpr_workgroup_id_x 1
		.amdhsa_system_sgpr_workgroup_id_y 1
		.amdhsa_system_sgpr_workgroup_id_z 0
		.amdhsa_system_sgpr_workgroup_info 0
		.amdhsa_system_vgpr_workitem_id 0
		.amdhsa_next_free_vgpr 12
		.amdhsa_next_free_sgpr 12
		.amdhsa_accum_offset 12
		.amdhsa_reserve_vcc 1
		.amdhsa_reserve_flat_scratch 0
		.amdhsa_float_round_mode_32 0
		.amdhsa_float_round_mode_16_64 0
		.amdhsa_float_denorm_mode_32 3
		.amdhsa_float_denorm_mode_16_64 3
		.amdhsa_dx10_clamp 1
		.amdhsa_ieee_mode 1
		.amdhsa_fp16_overflow 0
		.amdhsa_tg_split 0
		.amdhsa_exception_fp_ieee_invalid_op 0
		.amdhsa_exception_fp_denorm_src 0
		.amdhsa_exception_fp_ieee_div_zero 0
		.amdhsa_exception_fp_ieee_overflow 0
		.amdhsa_exception_fp_ieee_underflow 0
		.amdhsa_exception_fp_ieee_inexact 0
		.amdhsa_exception_int_div_zero 0
	.end_amdhsa_kernel
	.section	.text._ZN2at6native31matrix_to_m16n8k16_Bint4_layoutILi4EEEvN5torch10headeronly6detail27GenericPackedTensorAccessorINS4_14TensorAccessorIN3c108ArrayRefIlEEhLm1ENS3_17RestrictPtrTraitsEiEENS_6detail16IndexBoundsCheckILm2EiEEhLm2ESA_iEENS5_INS6_IS9_iLm3ESA_iEENSD_ILm4EiEEiLm4ESA_iEE,"axG",@progbits,_ZN2at6native31matrix_to_m16n8k16_Bint4_layoutILi4EEEvN5torch10headeronly6detail27GenericPackedTensorAccessorINS4_14TensorAccessorIN3c108ArrayRefIlEEhLm1ENS3_17RestrictPtrTraitsEiEENS_6detail16IndexBoundsCheckILm2EiEEhLm2ESA_iEENS5_INS6_IS9_iLm3ESA_iEENSD_ILm4EiEEiLm4ESA_iEE,comdat
.Lfunc_end13:
	.size	_ZN2at6native31matrix_to_m16n8k16_Bint4_layoutILi4EEEvN5torch10headeronly6detail27GenericPackedTensorAccessorINS4_14TensorAccessorIN3c108ArrayRefIlEEhLm1ENS3_17RestrictPtrTraitsEiEENS_6detail16IndexBoundsCheckILm2EiEEhLm2ESA_iEENS5_INS6_IS9_iLm3ESA_iEENSD_ILm4EiEEiLm4ESA_iEE, .Lfunc_end13-_ZN2at6native31matrix_to_m16n8k16_Bint4_layoutILi4EEEvN5torch10headeronly6detail27GenericPackedTensorAccessorINS4_14TensorAccessorIN3c108ArrayRefIlEEhLm1ENS3_17RestrictPtrTraitsEiEENS_6detail16IndexBoundsCheckILm2EiEEhLm2ESA_iEENS5_INS6_IS9_iLm3ESA_iEENSD_ILm4EiEEiLm4ESA_iEE
                                        ; -- End function
	.section	.AMDGPU.csdata,"",@progbits
; Kernel info:
; codeLenInByte = 860
; NumSgprs: 16
; NumVgprs: 12
; NumAgprs: 0
; TotalNumVgprs: 12
; ScratchSize: 0
; MemoryBound: 0
; FloatMode: 240
; IeeeMode: 1
; LDSByteSize: 0 bytes/workgroup (compile time only)
; SGPRBlocks: 1
; VGPRBlocks: 1
; NumSGPRsForWavesPerEU: 16
; NumVGPRsForWavesPerEU: 12
; AccumOffset: 12
; Occupancy: 8
; WaveLimiterHint : 0
; COMPUTE_PGM_RSRC2:SCRATCH_EN: 0
; COMPUTE_PGM_RSRC2:USER_SGPR: 6
; COMPUTE_PGM_RSRC2:TRAP_HANDLER: 0
; COMPUTE_PGM_RSRC2:TGID_X_EN: 1
; COMPUTE_PGM_RSRC2:TGID_Y_EN: 1
; COMPUTE_PGM_RSRC2:TGID_Z_EN: 0
; COMPUTE_PGM_RSRC2:TIDIG_COMP_CNT: 0
; COMPUTE_PGM_RSRC3_GFX90A:ACCUM_OFFSET: 2
; COMPUTE_PGM_RSRC3_GFX90A:TG_SPLIT: 0
	.section	.text._ZN2at6native31matrix_to_m16n8k16_Bint4_layoutILi8EEEvN5torch10headeronly6detail27GenericPackedTensorAccessorINS4_14TensorAccessorIN3c108ArrayRefIlEEhLm1ENS3_17RestrictPtrTraitsEiEENS_6detail16IndexBoundsCheckILm2EiEEhLm2ESA_iEENS5_INS6_IS9_iLm3ESA_iEENSD_ILm4EiEEiLm4ESA_iEE,"axG",@progbits,_ZN2at6native31matrix_to_m16n8k16_Bint4_layoutILi8EEEvN5torch10headeronly6detail27GenericPackedTensorAccessorINS4_14TensorAccessorIN3c108ArrayRefIlEEhLm1ENS3_17RestrictPtrTraitsEiEENS_6detail16IndexBoundsCheckILm2EiEEhLm2ESA_iEENS5_INS6_IS9_iLm3ESA_iEENSD_ILm4EiEEiLm4ESA_iEE,comdat
	.protected	_ZN2at6native31matrix_to_m16n8k16_Bint4_layoutILi8EEEvN5torch10headeronly6detail27GenericPackedTensorAccessorINS4_14TensorAccessorIN3c108ArrayRefIlEEhLm1ENS3_17RestrictPtrTraitsEiEENS_6detail16IndexBoundsCheckILm2EiEEhLm2ESA_iEENS5_INS6_IS9_iLm3ESA_iEENSD_ILm4EiEEiLm4ESA_iEE ; -- Begin function _ZN2at6native31matrix_to_m16n8k16_Bint4_layoutILi8EEEvN5torch10headeronly6detail27GenericPackedTensorAccessorINS4_14TensorAccessorIN3c108ArrayRefIlEEhLm1ENS3_17RestrictPtrTraitsEiEENS_6detail16IndexBoundsCheckILm2EiEEhLm2ESA_iEENS5_INS6_IS9_iLm3ESA_iEENSD_ILm4EiEEiLm4ESA_iEE
	.globl	_ZN2at6native31matrix_to_m16n8k16_Bint4_layoutILi8EEEvN5torch10headeronly6detail27GenericPackedTensorAccessorINS4_14TensorAccessorIN3c108ArrayRefIlEEhLm1ENS3_17RestrictPtrTraitsEiEENS_6detail16IndexBoundsCheckILm2EiEEhLm2ESA_iEENS5_INS6_IS9_iLm3ESA_iEENSD_ILm4EiEEiLm4ESA_iEE
	.p2align	8
	.type	_ZN2at6native31matrix_to_m16n8k16_Bint4_layoutILi8EEEvN5torch10headeronly6detail27GenericPackedTensorAccessorINS4_14TensorAccessorIN3c108ArrayRefIlEEhLm1ENS3_17RestrictPtrTraitsEiEENS_6detail16IndexBoundsCheckILm2EiEEhLm2ESA_iEENS5_INS6_IS9_iLm3ESA_iEENSD_ILm4EiEEiLm4ESA_iEE,@function
_ZN2at6native31matrix_to_m16n8k16_Bint4_layoutILi8EEEvN5torch10headeronly6detail27GenericPackedTensorAccessorINS4_14TensorAccessorIN3c108ArrayRefIlEEhLm1ENS3_17RestrictPtrTraitsEiEENS_6detail16IndexBoundsCheckILm2EiEEhLm2ESA_iEENS5_INS6_IS9_iLm3ESA_iEENSD_ILm4EiEEiLm4ESA_iEE: ; @_ZN2at6native31matrix_to_m16n8k16_Bint4_layoutILi8EEEvN5torch10headeronly6detail27GenericPackedTensorAccessorINS4_14TensorAccessorIN3c108ArrayRefIlEEhLm1ENS3_17RestrictPtrTraitsEiEENS_6detail16IndexBoundsCheckILm2EiEEhLm2ESA_iEENS5_INS6_IS9_iLm3ESA_iEENSD_ILm4EiEEiLm4ESA_iEE
; %bb.0:
	s_load_dwordx4 s[8:11], s[4:5], 0x8
	s_load_dwordx2 s[0:1], s[4:5], 0x0
	v_and_b32_e32 v1, 15, v0
	v_lshl_or_b32 v1, s7, 4, v1
	v_lshrrev_b32_e32 v2, 3, v0
	s_waitcnt lgkmcnt(0)
	v_cmp_gt_u32_e32 vcc, s8, v1
	v_mul_lo_u32 v1, s10, v1
	v_ashrrev_i32_e32 v3, 31, v1
	v_mov_b32_e32 v5, s1
	v_add_co_u32_e64 v4, s[0:1], s0, v1
	v_addc_co_u32_e64 v5, s[0:1], v5, v3, s[0:1]
	s_lshl_b32 s0, s6, 6
	v_and_b32_e32 v2, 0x7e, v2
	s_and_b32 s0, s0, 0x7fffffc0
	v_add_u32_e32 v6, s0, v2
	v_cmp_gt_i32_e64 s[0:1], s9, v6
	s_and_b64 s[0:1], vcc, s[0:1]
	v_mov_b32_e32 v1, 0
	v_ashrrev_i32_e32 v2, 31, v6
	v_mov_b32_e32 v3, 0
	s_and_saveexec_b64 s[2:3], s[0:1]
	s_cbranch_execz .LBB14_2
; %bb.1:
	v_add_co_u32_e64 v8, s[0:1], v4, v6
	v_addc_co_u32_e64 v9, s[0:1], v5, v2, s[0:1]
	global_load_ubyte v3, v[8:9], off
.LBB14_2:
	s_or_b64 exec, exec, s[2:3]
	v_or_b32_e32 v7, 1, v6
	v_cmp_gt_i32_e64 s[0:1], s9, v7
	s_and_b64 s[0:1], vcc, s[0:1]
	s_and_saveexec_b64 s[2:3], s[0:1]
	s_cbranch_execz .LBB14_4
; %bb.3:
	v_add_co_u32_e64 v8, s[0:1], v4, v6
	v_addc_co_u32_e64 v9, s[0:1], v5, v2, s[0:1]
	global_load_ubyte v1, v[8:9], off offset:1
.LBB14_4:
	s_or_b64 exec, exec, s[2:3]
	s_load_dwordx2 s[2:3], s[4:5], 0x18
	v_add_u32_e32 v2, 8, v6
	v_cmp_gt_i32_e64 s[0:1], s9, v2
	s_and_b64 s[0:1], vcc, s[0:1]
	v_mov_b32_e32 v8, 0
	v_ashrrev_i32_e32 v9, 31, v2
	v_mov_b32_e32 v7, 0
	s_and_saveexec_b64 s[10:11], s[0:1]
	s_cbranch_execz .LBB14_6
; %bb.5:
	v_add_co_u32_e64 v10, s[0:1], v4, v2
	v_addc_co_u32_e64 v11, s[0:1], v5, v9, s[0:1]
	global_load_ubyte v7, v[10:11], off
.LBB14_6:
	s_or_b64 exec, exec, s[10:11]
	s_load_dword s8, s[4:5], 0x24
	v_or_b32_e32 v10, 1, v2
	v_cmp_gt_i32_e64 s[0:1], s9, v10
	s_and_b64 s[0:1], vcc, s[0:1]
	s_and_saveexec_b64 s[4:5], s[0:1]
	s_cbranch_execz .LBB14_8
; %bb.7:
	v_add_co_u32_e64 v8, s[0:1], v4, v2
	v_addc_co_u32_e64 v9, s[0:1], v5, v9, s[0:1]
	global_load_ubyte v8, v[8:9], off offset:1
.LBB14_8:
	s_or_b64 exec, exec, s[4:5]
	s_waitcnt lgkmcnt(0)
	s_mul_i32 s0, s8, s7
	s_add_i32 s0, s0, s6
	v_lshlrev_b32_e32 v0, 2, v0
	v_lshl_add_u32 v2, s0, 8, v0
	s_waitcnt vmcnt(0)
	v_lshlrev_b32_e32 v0, 28, v8
	v_lshlrev_b32_e32 v9, 24, v7
	s_mov_b32 s0, 0xf000000
	v_and_or_b32 v0, v9, s0, v0
	v_lshlrev_b32_e32 v9, 20, v1
	v_lshlrev_b32_e32 v10, 16, v3
	v_and_b32_e32 v9, 0xf00000, v9
	v_and_b32_e32 v10, 0xf0000, v10
	v_lshlrev_b32_e32 v8, 8, v8
	v_lshlrev_b32_e32 v7, 4, v7
	v_or3_b32 v0, v0, v9, v10
	v_and_b32_e32 v8, 0xf000, v8
	v_and_b32_e32 v7, 0xf00, v7
	v_or3_b32 v0, v0, v8, v7
	v_and_b32_e32 v1, 0xf0, v1
	v_lshrrev_b32_e32 v3, 4, v3
	v_or3_b32 v7, v0, v1, v3
	v_mov_b32_e32 v3, 0
	v_lshlrev_b64 v[0:1], 2, v[2:3]
	v_mov_b32_e32 v2, s3
	v_add_co_u32_e64 v0, s[0:1], s2, v0
	v_addc_co_u32_e64 v1, s[0:1], v2, v1, s[0:1]
	global_store_dword v[0:1], v7, off
	v_add_u32_e32 v7, 16, v6
	v_cmp_gt_i32_e64 s[0:1], s9, v7
	s_and_b64 s[0:1], vcc, s[0:1]
	v_ashrrev_i32_e32 v8, 31, v7
	v_mov_b32_e32 v2, 0
	s_and_saveexec_b64 s[2:3], s[0:1]
	s_cbranch_execz .LBB14_10
; %bb.9:
	v_add_co_u32_e64 v10, s[0:1], v4, v7
	v_addc_co_u32_e64 v11, s[0:1], v5, v8, s[0:1]
	global_load_ubyte v2, v[10:11], off
.LBB14_10:
	s_or_b64 exec, exec, s[2:3]
	v_or_b32_e32 v9, 1, v7
	v_cmp_gt_i32_e64 s[0:1], s9, v9
	s_and_b64 s[0:1], vcc, s[0:1]
	s_and_saveexec_b64 s[2:3], s[0:1]
	s_cbranch_execz .LBB14_12
; %bb.11:
	v_add_co_u32_e64 v10, s[0:1], v4, v7
	v_addc_co_u32_e64 v11, s[0:1], v5, v8, s[0:1]
	global_load_ubyte v3, v[10:11], off offset:1
.LBB14_12:
	s_or_b64 exec, exec, s[2:3]
	v_add_u32_e32 v9, 24, v6
	v_cmp_gt_i32_e64 s[0:1], s9, v9
	s_and_b64 s[0:1], vcc, s[0:1]
	v_mov_b32_e32 v8, 0
	v_ashrrev_i32_e32 v10, 31, v9
	v_mov_b32_e32 v7, 0
	s_and_saveexec_b64 s[2:3], s[0:1]
	s_cbranch_execz .LBB14_14
; %bb.13:
	v_add_co_u32_e64 v12, s[0:1], v4, v9
	v_addc_co_u32_e64 v13, s[0:1], v5, v10, s[0:1]
	global_load_ubyte v7, v[12:13], off
.LBB14_14:
	s_or_b64 exec, exec, s[2:3]
	v_or_b32_e32 v11, 1, v9
	v_cmp_gt_i32_e64 s[0:1], s9, v11
	s_and_b64 s[0:1], vcc, s[0:1]
	s_and_saveexec_b64 s[2:3], s[0:1]
	s_cbranch_execz .LBB14_16
; %bb.15:
	v_add_co_u32_e64 v8, s[0:1], v4, v9
	v_addc_co_u32_e64 v9, s[0:1], v5, v10, s[0:1]
	global_load_ubyte v8, v[8:9], off offset:1
.LBB14_16:
	s_or_b64 exec, exec, s[2:3]
	s_waitcnt vmcnt(0)
	v_lshlrev_b32_e32 v9, 28, v8
	v_lshlrev_b32_e32 v10, 24, v7
	s_mov_b32 s0, 0xf000000
	v_and_or_b32 v9, v10, s0, v9
	v_lshlrev_b32_e32 v10, 20, v3
	v_lshlrev_b32_e32 v11, 16, v2
	v_and_b32_e32 v10, 0xf00000, v10
	v_and_b32_e32 v11, 0xf0000, v11
	v_lshlrev_b32_e32 v8, 8, v8
	v_lshlrev_b32_e32 v7, 4, v7
	v_or3_b32 v9, v9, v10, v11
	v_and_b32_e32 v8, 0xf000, v8
	v_and_b32_e32 v7, 0xf00, v7
	v_or3_b32 v7, v9, v8, v7
	v_and_b32_e32 v3, 0xf0, v3
	v_lshrrev_b32_e32 v2, 4, v2
	v_or3_b32 v2, v7, v3, v2
	v_add_u32_e32 v7, 32, v6
	v_cmp_gt_i32_e64 s[0:1], s9, v7
	global_store_dword v[0:1], v2, off offset:4
	s_and_b64 s[0:1], vcc, s[0:1]
	v_mov_b32_e32 v2, 0
	v_ashrrev_i32_e32 v8, 31, v7
	v_mov_b32_e32 v3, 0
	s_and_saveexec_b64 s[2:3], s[0:1]
	s_cbranch_execz .LBB14_18
; %bb.17:
	v_add_co_u32_e64 v10, s[0:1], v4, v7
	v_addc_co_u32_e64 v11, s[0:1], v5, v8, s[0:1]
	global_load_ubyte v3, v[10:11], off
.LBB14_18:
	s_or_b64 exec, exec, s[2:3]
	v_or_b32_e32 v9, 1, v7
	v_cmp_gt_i32_e64 s[0:1], s9, v9
	s_and_b64 s[0:1], vcc, s[0:1]
	s_and_saveexec_b64 s[2:3], s[0:1]
	s_cbranch_execz .LBB14_20
; %bb.19:
	v_add_co_u32_e64 v10, s[0:1], v4, v7
	v_addc_co_u32_e64 v11, s[0:1], v5, v8, s[0:1]
	global_load_ubyte v2, v[10:11], off offset:1
.LBB14_20:
	s_or_b64 exec, exec, s[2:3]
	v_add_u32_e32 v9, 40, v6
	v_cmp_gt_i32_e64 s[0:1], s9, v9
	s_and_b64 s[0:1], vcc, s[0:1]
	v_mov_b32_e32 v8, 0
	v_ashrrev_i32_e32 v10, 31, v9
	v_mov_b32_e32 v7, 0
	s_and_saveexec_b64 s[2:3], s[0:1]
	s_cbranch_execz .LBB14_22
; %bb.21:
	v_add_co_u32_e64 v12, s[0:1], v4, v9
	v_addc_co_u32_e64 v13, s[0:1], v5, v10, s[0:1]
	global_load_ubyte v7, v[12:13], off
.LBB14_22:
	s_or_b64 exec, exec, s[2:3]
	v_or_b32_e32 v11, 1, v9
	v_cmp_gt_i32_e64 s[0:1], s9, v11
	s_and_b64 s[0:1], vcc, s[0:1]
	s_and_saveexec_b64 s[2:3], s[0:1]
	s_cbranch_execz .LBB14_24
; %bb.23:
	v_add_co_u32_e64 v8, s[0:1], v4, v9
	v_addc_co_u32_e64 v9, s[0:1], v5, v10, s[0:1]
	global_load_ubyte v8, v[8:9], off offset:1
.LBB14_24:
	s_or_b64 exec, exec, s[2:3]
	s_waitcnt vmcnt(0)
	v_lshlrev_b32_e32 v9, 28, v8
	v_lshlrev_b32_e32 v10, 24, v7
	s_mov_b32 s0, 0xf000000
	v_and_or_b32 v9, v10, s0, v9
	v_lshlrev_b32_e32 v10, 20, v2
	v_lshlrev_b32_e32 v11, 16, v3
	v_and_b32_e32 v10, 0xf00000, v10
	v_and_b32_e32 v11, 0xf0000, v11
	v_lshlrev_b32_e32 v8, 8, v8
	v_lshlrev_b32_e32 v7, 4, v7
	v_or3_b32 v9, v9, v10, v11
	v_and_b32_e32 v8, 0xf000, v8
	v_and_b32_e32 v7, 0xf00, v7
	v_or3_b32 v7, v9, v8, v7
	v_and_b32_e32 v2, 0xf0, v2
	v_lshrrev_b32_e32 v3, 4, v3
	v_or3_b32 v2, v7, v2, v3
	v_add_u32_e32 v7, 48, v6
	v_cmp_gt_i32_e64 s[0:1], s9, v7
	global_store_dword v[0:1], v2, off offset:8
	s_and_b64 s[0:1], vcc, s[0:1]
	v_mov_b32_e32 v2, 0
	v_ashrrev_i32_e32 v8, 31, v7
	v_mov_b32_e32 v3, 0
	s_and_saveexec_b64 s[2:3], s[0:1]
	s_cbranch_execz .LBB14_26
; %bb.25:
	v_add_co_u32_e64 v10, s[0:1], v4, v7
	v_addc_co_u32_e64 v11, s[0:1], v5, v8, s[0:1]
	global_load_ubyte v3, v[10:11], off
.LBB14_26:
	s_or_b64 exec, exec, s[2:3]
	v_or_b32_e32 v9, 1, v7
	v_cmp_gt_i32_e64 s[0:1], s9, v9
	s_and_b64 s[0:1], vcc, s[0:1]
	s_and_saveexec_b64 s[2:3], s[0:1]
	s_cbranch_execz .LBB14_28
; %bb.27:
	v_add_co_u32_e64 v10, s[0:1], v4, v7
	v_addc_co_u32_e64 v11, s[0:1], v5, v8, s[0:1]
	global_load_ubyte v2, v[10:11], off offset:1
.LBB14_28:
	s_or_b64 exec, exec, s[2:3]
	v_add_u32_e32 v8, 56, v6
	v_cmp_gt_i32_e64 s[0:1], s9, v8
	s_and_b64 s[0:1], vcc, s[0:1]
	v_mov_b32_e32 v7, 0
	v_ashrrev_i32_e32 v9, 31, v8
	v_mov_b32_e32 v6, 0
	s_and_saveexec_b64 s[2:3], s[0:1]
	s_cbranch_execz .LBB14_30
; %bb.29:
	v_add_co_u32_e64 v10, s[0:1], v4, v8
	v_addc_co_u32_e64 v11, s[0:1], v5, v9, s[0:1]
	global_load_ubyte v6, v[10:11], off
.LBB14_30:
	s_or_b64 exec, exec, s[2:3]
	v_or_b32_e32 v10, 1, v8
	v_cmp_gt_i32_e64 s[0:1], s9, v10
	s_and_b64 s[2:3], vcc, s[0:1]
	s_and_saveexec_b64 s[0:1], s[2:3]
	s_cbranch_execz .LBB14_32
; %bb.31:
	v_add_co_u32_e32 v4, vcc, v4, v8
	v_addc_co_u32_e32 v5, vcc, v5, v9, vcc
	global_load_ubyte v7, v[4:5], off offset:1
.LBB14_32:
	s_or_b64 exec, exec, s[0:1]
	s_waitcnt vmcnt(0)
	v_lshlrev_b32_e32 v4, 28, v7
	v_lshlrev_b32_e32 v5, 24, v6
	s_mov_b32 s0, 0xf000000
	v_and_or_b32 v4, v5, s0, v4
	v_lshlrev_b32_e32 v5, 20, v2
	v_lshlrev_b32_e32 v8, 16, v3
	v_and_b32_e32 v5, 0xf00000, v5
	v_and_b32_e32 v8, 0xf0000, v8
	v_or3_b32 v4, v4, v5, v8
	v_lshlrev_b32_e32 v5, 8, v7
	v_lshlrev_b32_e32 v6, 4, v6
	v_and_b32_e32 v5, 0xf000, v5
	v_and_b32_e32 v6, 0xf00, v6
	v_or3_b32 v4, v4, v5, v6
	v_and_b32_e32 v2, 0xf0, v2
	v_lshrrev_b32_e32 v3, 4, v3
	v_or3_b32 v2, v4, v2, v3
	global_store_dword v[0:1], v2, off offset:12
	s_endpgm
	.section	.rodata,"a",@progbits
	.p2align	6, 0x0
	.amdhsa_kernel _ZN2at6native31matrix_to_m16n8k16_Bint4_layoutILi8EEEvN5torch10headeronly6detail27GenericPackedTensorAccessorINS4_14TensorAccessorIN3c108ArrayRefIlEEhLm1ENS3_17RestrictPtrTraitsEiEENS_6detail16IndexBoundsCheckILm2EiEEhLm2ESA_iEENS5_INS6_IS9_iLm3ESA_iEENSD_ILm4EiEEiLm4ESA_iEE
		.amdhsa_group_segment_fixed_size 0
		.amdhsa_private_segment_fixed_size 0
		.amdhsa_kernarg_size 64
		.amdhsa_user_sgpr_count 6
		.amdhsa_user_sgpr_private_segment_buffer 1
		.amdhsa_user_sgpr_dispatch_ptr 0
		.amdhsa_user_sgpr_queue_ptr 0
		.amdhsa_user_sgpr_kernarg_segment_ptr 1
		.amdhsa_user_sgpr_dispatch_id 0
		.amdhsa_user_sgpr_flat_scratch_init 0
		.amdhsa_user_sgpr_kernarg_preload_length 0
		.amdhsa_user_sgpr_kernarg_preload_offset 0
		.amdhsa_user_sgpr_private_segment_size 0
		.amdhsa_uses_dynamic_stack 0
		.amdhsa_system_sgpr_private_segment_wavefront_offset 0
		.amdhsa_system_sgpr_workgroup_id_x 1
		.amdhsa_system_sgpr_workgroup_id_y 1
		.amdhsa_system_sgpr_workgroup_id_z 0
		.amdhsa_system_sgpr_workgroup_info 0
		.amdhsa_system_vgpr_workitem_id 0
		.amdhsa_next_free_vgpr 14
		.amdhsa_next_free_sgpr 12
		.amdhsa_accum_offset 16
		.amdhsa_reserve_vcc 1
		.amdhsa_reserve_flat_scratch 0
		.amdhsa_float_round_mode_32 0
		.amdhsa_float_round_mode_16_64 0
		.amdhsa_float_denorm_mode_32 3
		.amdhsa_float_denorm_mode_16_64 3
		.amdhsa_dx10_clamp 1
		.amdhsa_ieee_mode 1
		.amdhsa_fp16_overflow 0
		.amdhsa_tg_split 0
		.amdhsa_exception_fp_ieee_invalid_op 0
		.amdhsa_exception_fp_denorm_src 0
		.amdhsa_exception_fp_ieee_div_zero 0
		.amdhsa_exception_fp_ieee_overflow 0
		.amdhsa_exception_fp_ieee_underflow 0
		.amdhsa_exception_fp_ieee_inexact 0
		.amdhsa_exception_int_div_zero 0
	.end_amdhsa_kernel
	.section	.text._ZN2at6native31matrix_to_m16n8k16_Bint4_layoutILi8EEEvN5torch10headeronly6detail27GenericPackedTensorAccessorINS4_14TensorAccessorIN3c108ArrayRefIlEEhLm1ENS3_17RestrictPtrTraitsEiEENS_6detail16IndexBoundsCheckILm2EiEEhLm2ESA_iEENS5_INS6_IS9_iLm3ESA_iEENSD_ILm4EiEEiLm4ESA_iEE,"axG",@progbits,_ZN2at6native31matrix_to_m16n8k16_Bint4_layoutILi8EEEvN5torch10headeronly6detail27GenericPackedTensorAccessorINS4_14TensorAccessorIN3c108ArrayRefIlEEhLm1ENS3_17RestrictPtrTraitsEiEENS_6detail16IndexBoundsCheckILm2EiEEhLm2ESA_iEENS5_INS6_IS9_iLm3ESA_iEENSD_ILm4EiEEiLm4ESA_iEE,comdat
.Lfunc_end14:
	.size	_ZN2at6native31matrix_to_m16n8k16_Bint4_layoutILi8EEEvN5torch10headeronly6detail27GenericPackedTensorAccessorINS4_14TensorAccessorIN3c108ArrayRefIlEEhLm1ENS3_17RestrictPtrTraitsEiEENS_6detail16IndexBoundsCheckILm2EiEEhLm2ESA_iEENS5_INS6_IS9_iLm3ESA_iEENSD_ILm4EiEEiLm4ESA_iEE, .Lfunc_end14-_ZN2at6native31matrix_to_m16n8k16_Bint4_layoutILi8EEEvN5torch10headeronly6detail27GenericPackedTensorAccessorINS4_14TensorAccessorIN3c108ArrayRefIlEEhLm1ENS3_17RestrictPtrTraitsEiEENS_6detail16IndexBoundsCheckILm2EiEEhLm2ESA_iEENS5_INS6_IS9_iLm3ESA_iEENSD_ILm4EiEEiLm4ESA_iEE
                                        ; -- End function
	.section	.AMDGPU.csdata,"",@progbits
; Kernel info:
; codeLenInByte = 1564
; NumSgprs: 16
; NumVgprs: 14
; NumAgprs: 0
; TotalNumVgprs: 14
; ScratchSize: 0
; MemoryBound: 0
; FloatMode: 240
; IeeeMode: 1
; LDSByteSize: 0 bytes/workgroup (compile time only)
; SGPRBlocks: 1
; VGPRBlocks: 1
; NumSGPRsForWavesPerEU: 16
; NumVGPRsForWavesPerEU: 14
; AccumOffset: 16
; Occupancy: 8
; WaveLimiterHint : 0
; COMPUTE_PGM_RSRC2:SCRATCH_EN: 0
; COMPUTE_PGM_RSRC2:USER_SGPR: 6
; COMPUTE_PGM_RSRC2:TRAP_HANDLER: 0
; COMPUTE_PGM_RSRC2:TGID_X_EN: 1
; COMPUTE_PGM_RSRC2:TGID_Y_EN: 1
; COMPUTE_PGM_RSRC2:TGID_Z_EN: 0
; COMPUTE_PGM_RSRC2:TIDIG_COMP_CNT: 0
; COMPUTE_PGM_RSRC3_GFX90A:ACCUM_OFFSET: 3
; COMPUTE_PGM_RSRC3_GFX90A:TG_SPLIT: 0
	.text
	.p2alignl 6, 3212836864
	.fill 256, 4, 3212836864
	.type	__hip_cuid_732241c89f794ff8,@object ; @__hip_cuid_732241c89f794ff8
	.section	.bss,"aw",@nobits
	.globl	__hip_cuid_732241c89f794ff8
__hip_cuid_732241c89f794ff8:
	.byte	0                               ; 0x0
	.size	__hip_cuid_732241c89f794ff8, 1

	.ident	"AMD clang version 19.0.0git (https://github.com/RadeonOpenCompute/llvm-project roc-6.4.0 25133 c7fe45cf4b819c5991fe208aaa96edf142730f1d)"
	.section	".note.GNU-stack","",@progbits
	.addrsig
	.addrsig_sym __hip_cuid_732241c89f794ff8
	.amdgpu_metadata
---
amdhsa.kernels:
  - .agpr_count:     0
    .args:
      - .actual_access:  read_only
        .address_space:  global
        .offset:         0
        .size:           8
        .value_kind:     global_buffer
      - .actual_access:  read_only
        .address_space:  global
        .offset:         8
        .size:           8
        .value_kind:     global_buffer
      - .actual_access:  read_only
        .address_space:  global
        .offset:         16
        .size:           8
        .value_kind:     global_buffer
      - .actual_access:  write_only
        .address_space:  global
        .offset:         24
        .size:           8
        .value_kind:     global_buffer
      - .offset:         32
        .size:           4
        .value_kind:     by_value
      - .offset:         36
        .size:           4
        .value_kind:     by_value
      - .offset:         40
        .size:           4
        .value_kind:     by_value
      - .offset:         44
        .size:           4
        .value_kind:     by_value
      - .offset:         48
        .size:           4
        .value_kind:     by_value
      - .offset:         52
        .size:           4
        .value_kind:     by_value
    .group_segment_fixed_size: 8192
    .kernarg_segment_align: 8
    .kernarg_segment_size: 56
    .language:       OpenCL C
    .language_version:
      - 2
      - 0
    .max_flat_workgroup_size: 512
    .name:           _ZN2at6native30tinygemm_m16n8k16_chunk_kernelINS0_10ALayout_RMILNS0_14KReductionTypeE0EEENS0_15BLayout_TC_int4ILi2ELi32EEES4_Li8ELi8EEEvPKvS8_S8_Pviiiiii
    .private_segment_fixed_size: 0
    .sgpr_count:     40
    .sgpr_spill_count: 0
    .symbol:         _ZN2at6native30tinygemm_m16n8k16_chunk_kernelINS0_10ALayout_RMILNS0_14KReductionTypeE0EEENS0_15BLayout_TC_int4ILi2ELi32EEES4_Li8ELi8EEEvPKvS8_S8_Pviiiiii.kd
    .uniform_work_group_size: 1
    .uses_dynamic_stack: false
    .vgpr_count:     70
    .vgpr_spill_count: 0
    .wavefront_size: 64
  - .agpr_count:     0
    .args:
      - .actual_access:  read_only
        .address_space:  global
        .offset:         0
        .size:           8
        .value_kind:     global_buffer
      - .actual_access:  read_only
        .address_space:  global
        .offset:         8
        .size:           8
        .value_kind:     global_buffer
      - .actual_access:  read_only
        .address_space:  global
        .offset:         16
        .size:           8
        .value_kind:     global_buffer
      - .actual_access:  write_only
        .address_space:  global
        .offset:         24
        .size:           8
        .value_kind:     global_buffer
      - .offset:         32
        .size:           4
        .value_kind:     by_value
      - .offset:         36
        .size:           4
        .value_kind:     by_value
      - .offset:         40
        .size:           4
        .value_kind:     by_value
      - .offset:         44
        .size:           4
        .value_kind:     by_value
      - .offset:         48
        .size:           4
        .value_kind:     by_value
      - .offset:         52
        .size:           4
        .value_kind:     by_value
    .group_segment_fixed_size: 8192
    .kernarg_segment_align: 8
    .kernarg_segment_size: 56
    .language:       OpenCL C
    .language_version:
      - 2
      - 0
    .max_flat_workgroup_size: 512
    .name:           _ZN2at6native30tinygemm_m16n8k16_chunk_kernelINS0_10ALayout_RMILNS0_14KReductionTypeE0EEENS0_15BLayout_TC_int4ILi4ELi32EEES4_Li8ELi8EEEvPKvS8_S8_Pviiiiii
    .private_segment_fixed_size: 0
    .sgpr_count:     41
    .sgpr_spill_count: 0
    .symbol:         _ZN2at6native30tinygemm_m16n8k16_chunk_kernelINS0_10ALayout_RMILNS0_14KReductionTypeE0EEENS0_15BLayout_TC_int4ILi4ELi32EEES4_Li8ELi8EEEvPKvS8_S8_Pviiiiii.kd
    .uniform_work_group_size: 1
    .uses_dynamic_stack: false
    .vgpr_count:     70
    .vgpr_spill_count: 0
    .wavefront_size: 64
  - .agpr_count:     0
    .args:
      - .actual_access:  read_only
        .address_space:  global
        .offset:         0
        .size:           8
        .value_kind:     global_buffer
      - .actual_access:  read_only
        .address_space:  global
        .offset:         8
        .size:           8
        .value_kind:     global_buffer
      - .actual_access:  read_only
        .address_space:  global
        .offset:         16
        .size:           8
        .value_kind:     global_buffer
      - .actual_access:  write_only
        .address_space:  global
        .offset:         24
        .size:           8
        .value_kind:     global_buffer
      - .offset:         32
        .size:           4
        .value_kind:     by_value
      - .offset:         36
        .size:           4
        .value_kind:     by_value
      - .offset:         40
        .size:           4
        .value_kind:     by_value
      - .offset:         44
        .size:           4
        .value_kind:     by_value
      - .offset:         48
        .size:           4
        .value_kind:     by_value
      - .offset:         52
        .size:           4
        .value_kind:     by_value
    .group_segment_fixed_size: 8192
    .kernarg_segment_align: 8
    .kernarg_segment_size: 56
    .language:       OpenCL C
    .language_version:
      - 2
      - 0
    .max_flat_workgroup_size: 512
    .name:           _ZN2at6native30tinygemm_m16n8k16_chunk_kernelINS0_10ALayout_RMILNS0_14KReductionTypeE0EEENS0_15BLayout_TC_int4ILi8ELi32EEES4_Li8ELi8EEEvPKvS8_S8_Pviiiiii
    .private_segment_fixed_size: 0
    .sgpr_count:     41
    .sgpr_spill_count: 0
    .symbol:         _ZN2at6native30tinygemm_m16n8k16_chunk_kernelINS0_10ALayout_RMILNS0_14KReductionTypeE0EEENS0_15BLayout_TC_int4ILi8ELi32EEES4_Li8ELi8EEEvPKvS8_S8_Pviiiiii.kd
    .uniform_work_group_size: 1
    .uses_dynamic_stack: false
    .vgpr_count:     72
    .vgpr_spill_count: 0
    .wavefront_size: 64
  - .agpr_count:     0
    .args:
      - .actual_access:  read_only
        .address_space:  global
        .offset:         0
        .size:           8
        .value_kind:     global_buffer
      - .actual_access:  read_only
        .address_space:  global
        .offset:         8
        .size:           8
        .value_kind:     global_buffer
      - .actual_access:  read_only
        .address_space:  global
        .offset:         16
        .size:           8
        .value_kind:     global_buffer
      - .actual_access:  write_only
        .address_space:  global
        .offset:         24
        .size:           8
        .value_kind:     global_buffer
      - .offset:         32
        .size:           4
        .value_kind:     by_value
      - .offset:         36
        .size:           4
        .value_kind:     by_value
      - .offset:         40
        .size:           4
        .value_kind:     by_value
      - .offset:         44
        .size:           4
        .value_kind:     by_value
      - .offset:         48
        .size:           4
        .value_kind:     by_value
      - .offset:         52
        .size:           4
        .value_kind:     by_value
    .group_segment_fixed_size: 8192
    .kernarg_segment_align: 8
    .kernarg_segment_size: 56
    .language:       OpenCL C
    .language_version:
      - 2
      - 0
    .max_flat_workgroup_size: 512
    .name:           _ZN2at6native30tinygemm_m16n8k16_chunk_kernelINS0_10ALayout_RMILNS0_14KReductionTypeE0EEENS0_15BLayout_TC_int4ILi2ELi64EEES4_Li8ELi8EEEvPKvS8_S8_Pviiiiii
    .private_segment_fixed_size: 0
    .sgpr_count:     35
    .sgpr_spill_count: 0
    .symbol:         _ZN2at6native30tinygemm_m16n8k16_chunk_kernelINS0_10ALayout_RMILNS0_14KReductionTypeE0EEENS0_15BLayout_TC_int4ILi2ELi64EEES4_Li8ELi8EEEvPKvS8_S8_Pviiiiii.kd
    .uniform_work_group_size: 1
    .uses_dynamic_stack: false
    .vgpr_count:     70
    .vgpr_spill_count: 0
    .wavefront_size: 64
  - .agpr_count:     0
    .args:
      - .actual_access:  read_only
        .address_space:  global
        .offset:         0
        .size:           8
        .value_kind:     global_buffer
      - .actual_access:  read_only
        .address_space:  global
        .offset:         8
        .size:           8
        .value_kind:     global_buffer
      - .actual_access:  read_only
        .address_space:  global
        .offset:         16
        .size:           8
        .value_kind:     global_buffer
      - .actual_access:  write_only
        .address_space:  global
        .offset:         24
        .size:           8
        .value_kind:     global_buffer
      - .offset:         32
        .size:           4
        .value_kind:     by_value
      - .offset:         36
        .size:           4
        .value_kind:     by_value
      - .offset:         40
        .size:           4
        .value_kind:     by_value
      - .offset:         44
        .size:           4
        .value_kind:     by_value
      - .offset:         48
        .size:           4
        .value_kind:     by_value
      - .offset:         52
        .size:           4
        .value_kind:     by_value
    .group_segment_fixed_size: 8192
    .kernarg_segment_align: 8
    .kernarg_segment_size: 56
    .language:       OpenCL C
    .language_version:
      - 2
      - 0
    .max_flat_workgroup_size: 512
    .name:           _ZN2at6native30tinygemm_m16n8k16_chunk_kernelINS0_10ALayout_RMILNS0_14KReductionTypeE0EEENS0_15BLayout_TC_int4ILi4ELi64EEES4_Li8ELi8EEEvPKvS8_S8_Pviiiiii
    .private_segment_fixed_size: 0
    .sgpr_count:     36
    .sgpr_spill_count: 0
    .symbol:         _ZN2at6native30tinygemm_m16n8k16_chunk_kernelINS0_10ALayout_RMILNS0_14KReductionTypeE0EEENS0_15BLayout_TC_int4ILi4ELi64EEES4_Li8ELi8EEEvPKvS8_S8_Pviiiiii.kd
    .uniform_work_group_size: 1
    .uses_dynamic_stack: false
    .vgpr_count:     70
    .vgpr_spill_count: 0
    .wavefront_size: 64
  - .agpr_count:     0
    .args:
      - .actual_access:  read_only
        .address_space:  global
        .offset:         0
        .size:           8
        .value_kind:     global_buffer
      - .actual_access:  read_only
        .address_space:  global
        .offset:         8
        .size:           8
        .value_kind:     global_buffer
      - .actual_access:  read_only
        .address_space:  global
        .offset:         16
        .size:           8
        .value_kind:     global_buffer
      - .actual_access:  write_only
        .address_space:  global
        .offset:         24
        .size:           8
        .value_kind:     global_buffer
      - .offset:         32
        .size:           4
        .value_kind:     by_value
      - .offset:         36
        .size:           4
        .value_kind:     by_value
      - .offset:         40
        .size:           4
        .value_kind:     by_value
      - .offset:         44
        .size:           4
        .value_kind:     by_value
      - .offset:         48
        .size:           4
        .value_kind:     by_value
      - .offset:         52
        .size:           4
        .value_kind:     by_value
    .group_segment_fixed_size: 8192
    .kernarg_segment_align: 8
    .kernarg_segment_size: 56
    .language:       OpenCL C
    .language_version:
      - 2
      - 0
    .max_flat_workgroup_size: 512
    .name:           _ZN2at6native30tinygemm_m16n8k16_chunk_kernelINS0_10ALayout_RMILNS0_14KReductionTypeE0EEENS0_15BLayout_TC_int4ILi8ELi64EEES4_Li8ELi8EEEvPKvS8_S8_Pviiiiii
    .private_segment_fixed_size: 0
    .sgpr_count:     35
    .sgpr_spill_count: 0
    .symbol:         _ZN2at6native30tinygemm_m16n8k16_chunk_kernelINS0_10ALayout_RMILNS0_14KReductionTypeE0EEENS0_15BLayout_TC_int4ILi8ELi64EEES4_Li8ELi8EEEvPKvS8_S8_Pviiiiii.kd
    .uniform_work_group_size: 1
    .uses_dynamic_stack: false
    .vgpr_count:     72
    .vgpr_spill_count: 0
    .wavefront_size: 64
  - .agpr_count:     0
    .args:
      - .actual_access:  read_only
        .address_space:  global
        .offset:         0
        .size:           8
        .value_kind:     global_buffer
      - .actual_access:  read_only
        .address_space:  global
        .offset:         8
        .size:           8
        .value_kind:     global_buffer
      - .actual_access:  read_only
        .address_space:  global
        .offset:         16
        .size:           8
        .value_kind:     global_buffer
      - .actual_access:  write_only
        .address_space:  global
        .offset:         24
        .size:           8
        .value_kind:     global_buffer
      - .offset:         32
        .size:           4
        .value_kind:     by_value
      - .offset:         36
        .size:           4
        .value_kind:     by_value
      - .offset:         40
        .size:           4
        .value_kind:     by_value
      - .offset:         44
        .size:           4
        .value_kind:     by_value
      - .offset:         48
        .size:           4
        .value_kind:     by_value
      - .offset:         52
        .size:           4
        .value_kind:     by_value
    .group_segment_fixed_size: 8192
    .kernarg_segment_align: 8
    .kernarg_segment_size: 56
    .language:       OpenCL C
    .language_version:
      - 2
      - 0
    .max_flat_workgroup_size: 512
    .name:           _ZN2at6native30tinygemm_m16n8k16_chunk_kernelINS0_10ALayout_RMILNS0_14KReductionTypeE0EEENS0_15BLayout_TC_int4ILi2ELi128EEES4_Li8ELi8EEEvPKvS8_S8_Pviiiiii
    .private_segment_fixed_size: 0
    .sgpr_count:     33
    .sgpr_spill_count: 0
    .symbol:         _ZN2at6native30tinygemm_m16n8k16_chunk_kernelINS0_10ALayout_RMILNS0_14KReductionTypeE0EEENS0_15BLayout_TC_int4ILi2ELi128EEES4_Li8ELi8EEEvPKvS8_S8_Pviiiiii.kd
    .uniform_work_group_size: 1
    .uses_dynamic_stack: false
    .vgpr_count:     70
    .vgpr_spill_count: 0
    .wavefront_size: 64
  - .agpr_count:     0
    .args:
      - .actual_access:  read_only
        .address_space:  global
        .offset:         0
        .size:           8
        .value_kind:     global_buffer
      - .actual_access:  read_only
        .address_space:  global
        .offset:         8
        .size:           8
        .value_kind:     global_buffer
      - .actual_access:  read_only
        .address_space:  global
        .offset:         16
        .size:           8
        .value_kind:     global_buffer
      - .actual_access:  write_only
        .address_space:  global
        .offset:         24
        .size:           8
        .value_kind:     global_buffer
      - .offset:         32
        .size:           4
        .value_kind:     by_value
      - .offset:         36
        .size:           4
        .value_kind:     by_value
      - .offset:         40
        .size:           4
        .value_kind:     by_value
      - .offset:         44
        .size:           4
        .value_kind:     by_value
      - .offset:         48
        .size:           4
        .value_kind:     by_value
      - .offset:         52
        .size:           4
        .value_kind:     by_value
    .group_segment_fixed_size: 8192
    .kernarg_segment_align: 8
    .kernarg_segment_size: 56
    .language:       OpenCL C
    .language_version:
      - 2
      - 0
    .max_flat_workgroup_size: 512
    .name:           _ZN2at6native30tinygemm_m16n8k16_chunk_kernelINS0_10ALayout_RMILNS0_14KReductionTypeE0EEENS0_15BLayout_TC_int4ILi4ELi128EEES4_Li8ELi8EEEvPKvS8_S8_Pviiiiii
    .private_segment_fixed_size: 0
    .sgpr_count:     34
    .sgpr_spill_count: 0
    .symbol:         _ZN2at6native30tinygemm_m16n8k16_chunk_kernelINS0_10ALayout_RMILNS0_14KReductionTypeE0EEENS0_15BLayout_TC_int4ILi4ELi128EEES4_Li8ELi8EEEvPKvS8_S8_Pviiiiii.kd
    .uniform_work_group_size: 1
    .uses_dynamic_stack: false
    .vgpr_count:     70
    .vgpr_spill_count: 0
    .wavefront_size: 64
  - .agpr_count:     0
    .args:
      - .actual_access:  read_only
        .address_space:  global
        .offset:         0
        .size:           8
        .value_kind:     global_buffer
      - .actual_access:  read_only
        .address_space:  global
        .offset:         8
        .size:           8
        .value_kind:     global_buffer
      - .actual_access:  read_only
        .address_space:  global
        .offset:         16
        .size:           8
        .value_kind:     global_buffer
      - .actual_access:  write_only
        .address_space:  global
        .offset:         24
        .size:           8
        .value_kind:     global_buffer
      - .offset:         32
        .size:           4
        .value_kind:     by_value
      - .offset:         36
        .size:           4
        .value_kind:     by_value
      - .offset:         40
        .size:           4
        .value_kind:     by_value
      - .offset:         44
        .size:           4
        .value_kind:     by_value
      - .offset:         48
        .size:           4
        .value_kind:     by_value
      - .offset:         52
        .size:           4
        .value_kind:     by_value
    .group_segment_fixed_size: 8192
    .kernarg_segment_align: 8
    .kernarg_segment_size: 56
    .language:       OpenCL C
    .language_version:
      - 2
      - 0
    .max_flat_workgroup_size: 512
    .name:           _ZN2at6native30tinygemm_m16n8k16_chunk_kernelINS0_10ALayout_RMILNS0_14KReductionTypeE0EEENS0_15BLayout_TC_int4ILi8ELi128EEES4_Li8ELi8EEEvPKvS8_S8_Pviiiiii
    .private_segment_fixed_size: 0
    .sgpr_count:     33
    .sgpr_spill_count: 0
    .symbol:         _ZN2at6native30tinygemm_m16n8k16_chunk_kernelINS0_10ALayout_RMILNS0_14KReductionTypeE0EEENS0_15BLayout_TC_int4ILi8ELi128EEES4_Li8ELi8EEEvPKvS8_S8_Pviiiiii.kd
    .uniform_work_group_size: 1
    .uses_dynamic_stack: false
    .vgpr_count:     72
    .vgpr_spill_count: 0
    .wavefront_size: 64
  - .agpr_count:     0
    .args:
      - .actual_access:  read_only
        .address_space:  global
        .offset:         0
        .size:           8
        .value_kind:     global_buffer
      - .actual_access:  read_only
        .address_space:  global
        .offset:         8
        .size:           8
        .value_kind:     global_buffer
      - .actual_access:  read_only
        .address_space:  global
        .offset:         16
        .size:           8
        .value_kind:     global_buffer
      - .actual_access:  write_only
        .address_space:  global
        .offset:         24
        .size:           8
        .value_kind:     global_buffer
      - .offset:         32
        .size:           4
        .value_kind:     by_value
      - .offset:         36
        .size:           4
        .value_kind:     by_value
      - .offset:         40
        .size:           4
        .value_kind:     by_value
      - .offset:         44
        .size:           4
        .value_kind:     by_value
      - .offset:         48
        .size:           4
        .value_kind:     by_value
      - .offset:         52
        .size:           4
        .value_kind:     by_value
    .group_segment_fixed_size: 8192
    .kernarg_segment_align: 8
    .kernarg_segment_size: 56
    .language:       OpenCL C
    .language_version:
      - 2
      - 0
    .max_flat_workgroup_size: 512
    .name:           _ZN2at6native30tinygemm_m16n8k16_chunk_kernelINS0_10ALayout_RMILNS0_14KReductionTypeE0EEENS0_15BLayout_TC_int4ILi2ELi256EEES4_Li8ELi8EEEvPKvS8_S8_Pviiiiii
    .private_segment_fixed_size: 0
    .sgpr_count:     33
    .sgpr_spill_count: 0
    .symbol:         _ZN2at6native30tinygemm_m16n8k16_chunk_kernelINS0_10ALayout_RMILNS0_14KReductionTypeE0EEENS0_15BLayout_TC_int4ILi2ELi256EEES4_Li8ELi8EEEvPKvS8_S8_Pviiiiii.kd
    .uniform_work_group_size: 1
    .uses_dynamic_stack: false
    .vgpr_count:     70
    .vgpr_spill_count: 0
    .wavefront_size: 64
  - .agpr_count:     0
    .args:
      - .actual_access:  read_only
        .address_space:  global
        .offset:         0
        .size:           8
        .value_kind:     global_buffer
      - .actual_access:  read_only
        .address_space:  global
        .offset:         8
        .size:           8
        .value_kind:     global_buffer
      - .actual_access:  read_only
        .address_space:  global
        .offset:         16
        .size:           8
        .value_kind:     global_buffer
      - .actual_access:  write_only
        .address_space:  global
        .offset:         24
        .size:           8
        .value_kind:     global_buffer
      - .offset:         32
        .size:           4
        .value_kind:     by_value
      - .offset:         36
        .size:           4
        .value_kind:     by_value
      - .offset:         40
        .size:           4
        .value_kind:     by_value
      - .offset:         44
        .size:           4
        .value_kind:     by_value
      - .offset:         48
        .size:           4
        .value_kind:     by_value
      - .offset:         52
        .size:           4
        .value_kind:     by_value
    .group_segment_fixed_size: 8192
    .kernarg_segment_align: 8
    .kernarg_segment_size: 56
    .language:       OpenCL C
    .language_version:
      - 2
      - 0
    .max_flat_workgroup_size: 512
    .name:           _ZN2at6native30tinygemm_m16n8k16_chunk_kernelINS0_10ALayout_RMILNS0_14KReductionTypeE0EEENS0_15BLayout_TC_int4ILi4ELi256EEES4_Li8ELi8EEEvPKvS8_S8_Pviiiiii
    .private_segment_fixed_size: 0
    .sgpr_count:     34
    .sgpr_spill_count: 0
    .symbol:         _ZN2at6native30tinygemm_m16n8k16_chunk_kernelINS0_10ALayout_RMILNS0_14KReductionTypeE0EEENS0_15BLayout_TC_int4ILi4ELi256EEES4_Li8ELi8EEEvPKvS8_S8_Pviiiiii.kd
    .uniform_work_group_size: 1
    .uses_dynamic_stack: false
    .vgpr_count:     70
    .vgpr_spill_count: 0
    .wavefront_size: 64
  - .agpr_count:     0
    .args:
      - .actual_access:  read_only
        .address_space:  global
        .offset:         0
        .size:           8
        .value_kind:     global_buffer
      - .actual_access:  read_only
        .address_space:  global
        .offset:         8
        .size:           8
        .value_kind:     global_buffer
      - .actual_access:  read_only
        .address_space:  global
        .offset:         16
        .size:           8
        .value_kind:     global_buffer
      - .actual_access:  write_only
        .address_space:  global
        .offset:         24
        .size:           8
        .value_kind:     global_buffer
      - .offset:         32
        .size:           4
        .value_kind:     by_value
      - .offset:         36
        .size:           4
        .value_kind:     by_value
      - .offset:         40
        .size:           4
        .value_kind:     by_value
      - .offset:         44
        .size:           4
        .value_kind:     by_value
      - .offset:         48
        .size:           4
        .value_kind:     by_value
      - .offset:         52
        .size:           4
        .value_kind:     by_value
    .group_segment_fixed_size: 8192
    .kernarg_segment_align: 8
    .kernarg_segment_size: 56
    .language:       OpenCL C
    .language_version:
      - 2
      - 0
    .max_flat_workgroup_size: 512
    .name:           _ZN2at6native30tinygemm_m16n8k16_chunk_kernelINS0_10ALayout_RMILNS0_14KReductionTypeE0EEENS0_15BLayout_TC_int4ILi8ELi256EEES4_Li8ELi8EEEvPKvS8_S8_Pviiiiii
    .private_segment_fixed_size: 0
    .sgpr_count:     33
    .sgpr_spill_count: 0
    .symbol:         _ZN2at6native30tinygemm_m16n8k16_chunk_kernelINS0_10ALayout_RMILNS0_14KReductionTypeE0EEENS0_15BLayout_TC_int4ILi8ELi256EEES4_Li8ELi8EEEvPKvS8_S8_Pviiiiii.kd
    .uniform_work_group_size: 1
    .uses_dynamic_stack: false
    .vgpr_count:     72
    .vgpr_spill_count: 0
    .wavefront_size: 64
  - .agpr_count:     0
    .args:
      - .offset:         0
        .size:           24
        .value_kind:     by_value
      - .offset:         24
        .size:           40
        .value_kind:     by_value
    .group_segment_fixed_size: 0
    .kernarg_segment_align: 8
    .kernarg_segment_size: 64
    .language:       OpenCL C
    .language_version:
      - 2
      - 0
    .max_flat_workgroup_size: 1024
    .name:           _ZN2at6native31matrix_to_m16n8k16_Bint4_layoutILi2EEEvN5torch10headeronly6detail27GenericPackedTensorAccessorINS4_14TensorAccessorIN3c108ArrayRefIlEEhLm1ENS3_17RestrictPtrTraitsEiEENS_6detail16IndexBoundsCheckILm2EiEEhLm2ESA_iEENS5_INS6_IS9_iLm3ESA_iEENSD_ILm4EiEEiLm4ESA_iEE
    .private_segment_fixed_size: 0
    .sgpr_count:     16
    .sgpr_spill_count: 0
    .symbol:         _ZN2at6native31matrix_to_m16n8k16_Bint4_layoutILi2EEEvN5torch10headeronly6detail27GenericPackedTensorAccessorINS4_14TensorAccessorIN3c108ArrayRefIlEEhLm1ENS3_17RestrictPtrTraitsEiEENS_6detail16IndexBoundsCheckILm2EiEEhLm2ESA_iEENS5_INS6_IS9_iLm3ESA_iEENSD_ILm4EiEEiLm4ESA_iEE.kd
    .uniform_work_group_size: 1
    .uses_dynamic_stack: false
    .vgpr_count:     12
    .vgpr_spill_count: 0
    .wavefront_size: 64
  - .agpr_count:     0
    .args:
      - .offset:         0
        .size:           24
        .value_kind:     by_value
      - .offset:         24
        .size:           40
        .value_kind:     by_value
    .group_segment_fixed_size: 0
    .kernarg_segment_align: 8
    .kernarg_segment_size: 64
    .language:       OpenCL C
    .language_version:
      - 2
      - 0
    .max_flat_workgroup_size: 1024
    .name:           _ZN2at6native31matrix_to_m16n8k16_Bint4_layoutILi4EEEvN5torch10headeronly6detail27GenericPackedTensorAccessorINS4_14TensorAccessorIN3c108ArrayRefIlEEhLm1ENS3_17RestrictPtrTraitsEiEENS_6detail16IndexBoundsCheckILm2EiEEhLm2ESA_iEENS5_INS6_IS9_iLm3ESA_iEENSD_ILm4EiEEiLm4ESA_iEE
    .private_segment_fixed_size: 0
    .sgpr_count:     16
    .sgpr_spill_count: 0
    .symbol:         _ZN2at6native31matrix_to_m16n8k16_Bint4_layoutILi4EEEvN5torch10headeronly6detail27GenericPackedTensorAccessorINS4_14TensorAccessorIN3c108ArrayRefIlEEhLm1ENS3_17RestrictPtrTraitsEiEENS_6detail16IndexBoundsCheckILm2EiEEhLm2ESA_iEENS5_INS6_IS9_iLm3ESA_iEENSD_ILm4EiEEiLm4ESA_iEE.kd
    .uniform_work_group_size: 1
    .uses_dynamic_stack: false
    .vgpr_count:     12
    .vgpr_spill_count: 0
    .wavefront_size: 64
  - .agpr_count:     0
    .args:
      - .offset:         0
        .size:           24
        .value_kind:     by_value
      - .offset:         24
        .size:           40
        .value_kind:     by_value
    .group_segment_fixed_size: 0
    .kernarg_segment_align: 8
    .kernarg_segment_size: 64
    .language:       OpenCL C
    .language_version:
      - 2
      - 0
    .max_flat_workgroup_size: 1024
    .name:           _ZN2at6native31matrix_to_m16n8k16_Bint4_layoutILi8EEEvN5torch10headeronly6detail27GenericPackedTensorAccessorINS4_14TensorAccessorIN3c108ArrayRefIlEEhLm1ENS3_17RestrictPtrTraitsEiEENS_6detail16IndexBoundsCheckILm2EiEEhLm2ESA_iEENS5_INS6_IS9_iLm3ESA_iEENSD_ILm4EiEEiLm4ESA_iEE
    .private_segment_fixed_size: 0
    .sgpr_count:     16
    .sgpr_spill_count: 0
    .symbol:         _ZN2at6native31matrix_to_m16n8k16_Bint4_layoutILi8EEEvN5torch10headeronly6detail27GenericPackedTensorAccessorINS4_14TensorAccessorIN3c108ArrayRefIlEEhLm1ENS3_17RestrictPtrTraitsEiEENS_6detail16IndexBoundsCheckILm2EiEEhLm2ESA_iEENS5_INS6_IS9_iLm3ESA_iEENSD_ILm4EiEEiLm4ESA_iEE.kd
    .uniform_work_group_size: 1
    .uses_dynamic_stack: false
    .vgpr_count:     14
    .vgpr_spill_count: 0
    .wavefront_size: 64
amdhsa.target:   amdgcn-amd-amdhsa--gfx90a
amdhsa.version:
  - 1
  - 2
...

	.end_amdgpu_metadata
